;; amdgpu-corpus repo=ROCm/rocFFT kind=compiled arch=gfx906 opt=O3
	.text
	.amdgcn_target "amdgcn-amd-amdhsa--gfx906"
	.amdhsa_code_object_version 6
	.protected	fft_rtc_back_len867_factors_17_17_3_wgs_51_tpt_51_halfLds_sp_ip_CI_sbrr_dirReg ; -- Begin function fft_rtc_back_len867_factors_17_17_3_wgs_51_tpt_51_halfLds_sp_ip_CI_sbrr_dirReg
	.globl	fft_rtc_back_len867_factors_17_17_3_wgs_51_tpt_51_halfLds_sp_ip_CI_sbrr_dirReg
	.p2align	8
	.type	fft_rtc_back_len867_factors_17_17_3_wgs_51_tpt_51_halfLds_sp_ip_CI_sbrr_dirReg,@function
fft_rtc_back_len867_factors_17_17_3_wgs_51_tpt_51_halfLds_sp_ip_CI_sbrr_dirReg: ; @fft_rtc_back_len867_factors_17_17_3_wgs_51_tpt_51_halfLds_sp_ip_CI_sbrr_dirReg
; %bb.0:
	s_load_dwordx2 s[14:15], s[4:5], 0x18
	s_load_dwordx4 s[8:11], s[4:5], 0x0
	s_load_dwordx2 s[12:13], s[4:5], 0x50
	v_mul_u32_u24_e32 v1, 0x506, v0
	v_add_u32_sdwa v5, s6, v1 dst_sel:DWORD dst_unused:UNUSED_PAD src0_sel:DWORD src1_sel:WORD_1
	s_waitcnt lgkmcnt(0)
	s_load_dwordx2 s[2:3], s[14:15], 0x0
	v_cmp_lt_u64_e64 s[0:1], s[10:11], 2
	v_mov_b32_e32 v3, 0
	v_mov_b32_e32 v1, 0
	;; [unrolled: 1-line block ×3, first 2 shown]
	s_and_b64 vcc, exec, s[0:1]
	v_mov_b32_e32 v2, 0
	s_cbranch_vccnz .LBB0_8
; %bb.1:
	s_load_dwordx2 s[0:1], s[4:5], 0x10
	s_add_u32 s6, s14, 8
	s_addc_u32 s7, s15, 0
	v_mov_b32_e32 v1, 0
	v_mov_b32_e32 v2, 0
	s_waitcnt lgkmcnt(0)
	s_add_u32 s16, s0, 8
	s_addc_u32 s17, s1, 0
	s_mov_b64 s[18:19], 1
.LBB0_2:                                ; =>This Inner Loop Header: Depth=1
	s_load_dwordx2 s[20:21], s[16:17], 0x0
                                        ; implicit-def: $vgpr7_vgpr8
	s_waitcnt lgkmcnt(0)
	v_or_b32_e32 v4, s21, v6
	v_cmp_ne_u64_e32 vcc, 0, v[3:4]
	s_and_saveexec_b64 s[0:1], vcc
	s_xor_b64 s[22:23], exec, s[0:1]
	s_cbranch_execz .LBB0_4
; %bb.3:                                ;   in Loop: Header=BB0_2 Depth=1
	v_cvt_f32_u32_e32 v4, s20
	v_cvt_f32_u32_e32 v7, s21
	s_sub_u32 s0, 0, s20
	s_subb_u32 s1, 0, s21
	v_mac_f32_e32 v4, 0x4f800000, v7
	v_rcp_f32_e32 v4, v4
	v_mul_f32_e32 v4, 0x5f7ffffc, v4
	v_mul_f32_e32 v7, 0x2f800000, v4
	v_trunc_f32_e32 v7, v7
	v_mac_f32_e32 v4, 0xcf800000, v7
	v_cvt_u32_f32_e32 v7, v7
	v_cvt_u32_f32_e32 v4, v4
	v_mul_lo_u32 v8, s0, v7
	v_mul_hi_u32 v9, s0, v4
	v_mul_lo_u32 v11, s1, v4
	v_mul_lo_u32 v10, s0, v4
	v_add_u32_e32 v8, v9, v8
	v_add_u32_e32 v8, v8, v11
	v_mul_hi_u32 v9, v4, v10
	v_mul_lo_u32 v11, v4, v8
	v_mul_hi_u32 v13, v4, v8
	v_mul_hi_u32 v12, v7, v10
	v_mul_lo_u32 v10, v7, v10
	v_mul_hi_u32 v14, v7, v8
	v_add_co_u32_e32 v9, vcc, v9, v11
	v_addc_co_u32_e32 v11, vcc, 0, v13, vcc
	v_mul_lo_u32 v8, v7, v8
	v_add_co_u32_e32 v9, vcc, v9, v10
	v_addc_co_u32_e32 v9, vcc, v11, v12, vcc
	v_addc_co_u32_e32 v10, vcc, 0, v14, vcc
	v_add_co_u32_e32 v8, vcc, v9, v8
	v_addc_co_u32_e32 v9, vcc, 0, v10, vcc
	v_add_co_u32_e32 v4, vcc, v4, v8
	v_addc_co_u32_e32 v7, vcc, v7, v9, vcc
	v_mul_lo_u32 v8, s0, v7
	v_mul_hi_u32 v9, s0, v4
	v_mul_lo_u32 v10, s1, v4
	v_mul_lo_u32 v11, s0, v4
	v_add_u32_e32 v8, v9, v8
	v_add_u32_e32 v8, v8, v10
	v_mul_lo_u32 v12, v4, v8
	v_mul_hi_u32 v13, v4, v11
	v_mul_hi_u32 v14, v4, v8
	;; [unrolled: 1-line block ×3, first 2 shown]
	v_mul_lo_u32 v11, v7, v11
	v_mul_hi_u32 v9, v7, v8
	v_add_co_u32_e32 v12, vcc, v13, v12
	v_addc_co_u32_e32 v13, vcc, 0, v14, vcc
	v_mul_lo_u32 v8, v7, v8
	v_add_co_u32_e32 v11, vcc, v12, v11
	v_addc_co_u32_e32 v10, vcc, v13, v10, vcc
	v_addc_co_u32_e32 v9, vcc, 0, v9, vcc
	v_add_co_u32_e32 v8, vcc, v10, v8
	v_addc_co_u32_e32 v9, vcc, 0, v9, vcc
	v_add_co_u32_e32 v4, vcc, v4, v8
	v_addc_co_u32_e32 v9, vcc, v7, v9, vcc
	v_mad_u64_u32 v[7:8], s[0:1], v5, v9, 0
	v_mul_hi_u32 v10, v5, v4
	v_add_co_u32_e32 v11, vcc, v10, v7
	v_addc_co_u32_e32 v12, vcc, 0, v8, vcc
	v_mad_u64_u32 v[7:8], s[0:1], v6, v4, 0
	v_mad_u64_u32 v[9:10], s[0:1], v6, v9, 0
	v_add_co_u32_e32 v4, vcc, v11, v7
	v_addc_co_u32_e32 v4, vcc, v12, v8, vcc
	v_addc_co_u32_e32 v7, vcc, 0, v10, vcc
	v_add_co_u32_e32 v4, vcc, v4, v9
	v_addc_co_u32_e32 v9, vcc, 0, v7, vcc
	v_mul_lo_u32 v10, s21, v4
	v_mul_lo_u32 v11, s20, v9
	v_mad_u64_u32 v[7:8], s[0:1], s20, v4, 0
	v_add3_u32 v8, v8, v11, v10
	v_sub_u32_e32 v10, v6, v8
	v_mov_b32_e32 v11, s21
	v_sub_co_u32_e32 v7, vcc, v5, v7
	v_subb_co_u32_e64 v10, s[0:1], v10, v11, vcc
	v_subrev_co_u32_e64 v11, s[0:1], s20, v7
	v_subbrev_co_u32_e64 v10, s[0:1], 0, v10, s[0:1]
	v_cmp_le_u32_e64 s[0:1], s21, v10
	v_cndmask_b32_e64 v12, 0, -1, s[0:1]
	v_cmp_le_u32_e64 s[0:1], s20, v11
	v_cndmask_b32_e64 v11, 0, -1, s[0:1]
	v_cmp_eq_u32_e64 s[0:1], s21, v10
	v_cndmask_b32_e64 v10, v12, v11, s[0:1]
	v_add_co_u32_e64 v11, s[0:1], 2, v4
	v_addc_co_u32_e64 v12, s[0:1], 0, v9, s[0:1]
	v_add_co_u32_e64 v13, s[0:1], 1, v4
	v_addc_co_u32_e64 v14, s[0:1], 0, v9, s[0:1]
	v_subb_co_u32_e32 v8, vcc, v6, v8, vcc
	v_cmp_ne_u32_e64 s[0:1], 0, v10
	v_cmp_le_u32_e32 vcc, s21, v8
	v_cndmask_b32_e64 v10, v14, v12, s[0:1]
	v_cndmask_b32_e64 v12, 0, -1, vcc
	v_cmp_le_u32_e32 vcc, s20, v7
	v_cndmask_b32_e64 v7, 0, -1, vcc
	v_cmp_eq_u32_e32 vcc, s21, v8
	v_cndmask_b32_e32 v7, v12, v7, vcc
	v_cmp_ne_u32_e32 vcc, 0, v7
	v_cndmask_b32_e64 v7, v13, v11, s[0:1]
	v_cndmask_b32_e32 v8, v9, v10, vcc
	v_cndmask_b32_e32 v7, v4, v7, vcc
.LBB0_4:                                ;   in Loop: Header=BB0_2 Depth=1
	s_andn2_saveexec_b64 s[0:1], s[22:23]
	s_cbranch_execz .LBB0_6
; %bb.5:                                ;   in Loop: Header=BB0_2 Depth=1
	v_cvt_f32_u32_e32 v4, s20
	s_sub_i32 s22, 0, s20
	v_rcp_iflag_f32_e32 v4, v4
	v_mul_f32_e32 v4, 0x4f7ffffe, v4
	v_cvt_u32_f32_e32 v4, v4
	v_mul_lo_u32 v7, s22, v4
	v_mul_hi_u32 v7, v4, v7
	v_add_u32_e32 v4, v4, v7
	v_mul_hi_u32 v4, v5, v4
	v_mul_lo_u32 v7, v4, s20
	v_add_u32_e32 v8, 1, v4
	v_sub_u32_e32 v7, v5, v7
	v_subrev_u32_e32 v9, s20, v7
	v_cmp_le_u32_e32 vcc, s20, v7
	v_cndmask_b32_e32 v7, v7, v9, vcc
	v_cndmask_b32_e32 v4, v4, v8, vcc
	v_add_u32_e32 v8, 1, v4
	v_cmp_le_u32_e32 vcc, s20, v7
	v_cndmask_b32_e32 v7, v4, v8, vcc
	v_mov_b32_e32 v8, v3
.LBB0_6:                                ;   in Loop: Header=BB0_2 Depth=1
	s_or_b64 exec, exec, s[0:1]
	v_mul_lo_u32 v4, v8, s20
	v_mul_lo_u32 v11, v7, s21
	v_mad_u64_u32 v[9:10], s[0:1], v7, s20, 0
	s_load_dwordx2 s[0:1], s[6:7], 0x0
	s_add_u32 s18, s18, 1
	v_add3_u32 v4, v10, v11, v4
	v_sub_co_u32_e32 v5, vcc, v5, v9
	v_subb_co_u32_e32 v4, vcc, v6, v4, vcc
	s_waitcnt lgkmcnt(0)
	v_mul_lo_u32 v4, s0, v4
	v_mul_lo_u32 v6, s1, v5
	v_mad_u64_u32 v[1:2], s[0:1], s0, v5, v[1:2]
	s_addc_u32 s19, s19, 0
	s_add_u32 s6, s6, 8
	v_add3_u32 v2, v6, v2, v4
	v_mov_b32_e32 v4, s10
	v_mov_b32_e32 v5, s11
	s_addc_u32 s7, s7, 0
	v_cmp_ge_u64_e32 vcc, s[18:19], v[4:5]
	s_add_u32 s16, s16, 8
	s_addc_u32 s17, s17, 0
	s_cbranch_vccnz .LBB0_9
; %bb.7:                                ;   in Loop: Header=BB0_2 Depth=1
	v_mov_b32_e32 v5, v7
	v_mov_b32_e32 v6, v8
	s_branch .LBB0_2
.LBB0_8:
	v_mov_b32_e32 v8, v6
	v_mov_b32_e32 v7, v5
.LBB0_9:
	s_lshl_b64 s[0:1], s[10:11], 3
	s_add_u32 s0, s14, s0
	s_addc_u32 s1, s15, s1
	s_load_dwordx2 s[6:7], s[0:1], 0x0
	s_load_dwordx2 s[10:11], s[4:5], 0x20
                                        ; implicit-def: $vgpr42
                                        ; implicit-def: $vgpr39
                                        ; implicit-def: $vgpr40
                                        ; implicit-def: $vgpr41
                                        ; implicit-def: $vgpr37
	s_waitcnt lgkmcnt(0)
	v_mad_u64_u32 v[1:2], s[0:1], s6, v7, v[1:2]
	s_mov_b32 s0, 0x5050506
	v_mul_lo_u32 v3, s6, v8
	v_mul_lo_u32 v4, s7, v7
	v_mul_hi_u32 v5, v0, s0
	v_cmp_gt_u64_e32 vcc, s[10:11], v[7:8]
	v_cmp_le_u64_e64 s[0:1], s[10:11], v[7:8]
	v_add3_u32 v2, v4, v2, v3
	v_mul_u32_u24_e32 v3, 51, v5
	v_sub_u32_e32 v36, v0, v3
	v_add_u32_e32 v38, 51, v36
                                        ; implicit-def: $sgpr6_sgpr7
	s_and_saveexec_b64 s[4:5], s[0:1]
	s_xor_b64 s[0:1], exec, s[4:5]
; %bb.10:
	v_add_u32_e32 v42, 51, v36
	v_add_u32_e32 v39, 0x66, v36
	;; [unrolled: 1-line block ×5, first 2 shown]
	s_mov_b64 s[6:7], 0
; %bb.11:
	s_or_saveexec_b64 s[4:5], s[0:1]
	v_lshlrev_b64 v[0:1], 3, v[1:2]
	v_mov_b32_e32 v31, s7
	v_mov_b32_e32 v30, s6
                                        ; implicit-def: $vgpr33
                                        ; implicit-def: $vgpr27
                                        ; implicit-def: $vgpr23
                                        ; implicit-def: $vgpr19
                                        ; implicit-def: $vgpr15
                                        ; implicit-def: $vgpr11
                                        ; implicit-def: $vgpr7
                                        ; implicit-def: $vgpr3
                                        ; implicit-def: $vgpr35
                                        ; implicit-def: $vgpr29
                                        ; implicit-def: $vgpr25
                                        ; implicit-def: $vgpr21
                                        ; implicit-def: $vgpr17
                                        ; implicit-def: $vgpr13
                                        ; implicit-def: $vgpr9
                                        ; implicit-def: $vgpr5
	s_xor_b64 exec, exec, s[4:5]
	s_cbranch_execz .LBB0_13
; %bb.12:
	v_mad_u64_u32 v[2:3], s[0:1], s2, v36, 0
	v_mov_b32_e32 v6, s13
	v_add_u32_e32 v39, 0x66, v36
	v_mad_u64_u32 v[3:4], s[0:1], s3, v36, v[3:4]
	v_mad_u64_u32 v[4:5], s[0:1], s2, v38, 0
	v_add_co_u32_e64 v10, s[0:1], s12, v0
	v_addc_co_u32_e64 v11, s[0:1], v6, v1, s[0:1]
	v_mad_u64_u32 v[5:6], s[0:1], s3, v38, v[5:6]
	v_mad_u64_u32 v[6:7], s[0:1], s2, v39, 0
	v_lshlrev_b64 v[2:3], 3, v[2:3]
	v_add_u32_e32 v40, 0x99, v36
	v_add_co_u32_e64 v28, s[0:1], v10, v2
	v_addc_co_u32_e64 v29, s[0:1], v11, v3, s[0:1]
	v_lshlrev_b64 v[2:3], 3, v[4:5]
	v_mov_b32_e32 v4, v7
	v_mad_u64_u32 v[4:5], s[0:1], s3, v39, v[4:5]
	v_mad_u64_u32 v[8:9], s[0:1], s2, v40, 0
	v_add_co_u32_e64 v34, s[0:1], v10, v2
	v_mov_b32_e32 v7, v4
	v_mov_b32_e32 v4, v9
	v_addc_co_u32_e64 v35, s[0:1], v11, v3, s[0:1]
	v_mad_u64_u32 v[4:5], s[0:1], s3, v40, v[4:5]
	v_add_u32_e32 v41, 0xcc, v36
	v_lshlrev_b64 v[2:3], 3, v[6:7]
	v_mad_u64_u32 v[5:6], s[0:1], s2, v41, 0
	v_add_co_u32_e64 v42, s[0:1], v10, v2
	v_mov_b32_e32 v9, v4
	v_mov_b32_e32 v4, v6
	v_addc_co_u32_e64 v43, s[0:1], v11, v3, s[0:1]
	v_mad_u64_u32 v[6:7], s[0:1], s3, v41, v[4:5]
	v_add_u32_e32 v37, 0xff, v36
	v_lshlrev_b64 v[2:3], 3, v[8:9]
	v_mad_u64_u32 v[7:8], s[0:1], s2, v37, 0
	v_add_co_u32_e64 v44, s[0:1], v10, v2
	v_mov_b32_e32 v4, v8
	v_addc_co_u32_e64 v45, s[0:1], v11, v3, s[0:1]
	v_lshlrev_b64 v[2:3], 3, v[5:6]
	v_mad_u64_u32 v[4:5], s[0:1], s3, v37, v[4:5]
	v_add_u32_e32 v9, 0x132, v36
	v_mad_u64_u32 v[5:6], s[0:1], s2, v9, 0
	v_add_co_u32_e64 v46, s[0:1], v10, v2
	v_mov_b32_e32 v8, v4
	v_mov_b32_e32 v4, v6
	v_addc_co_u32_e64 v47, s[0:1], v11, v3, s[0:1]
	v_lshlrev_b64 v[2:3], 3, v[7:8]
	v_mad_u64_u32 v[6:7], s[0:1], s3, v9, v[4:5]
	v_add_u32_e32 v9, 0x165, v36
	v_mad_u64_u32 v[7:8], s[0:1], s2, v9, 0
	v_add_co_u32_e64 v48, s[0:1], v10, v2
	v_mov_b32_e32 v4, v8
	v_addc_co_u32_e64 v49, s[0:1], v11, v3, s[0:1]
	v_lshlrev_b64 v[2:3], 3, v[5:6]
	v_mad_u64_u32 v[4:5], s[0:1], s3, v9, v[4:5]
	v_add_u32_e32 v9, 0x198, v36
	v_mad_u64_u32 v[5:6], s[0:1], s2, v9, 0
	v_add_co_u32_e64 v50, s[0:1], v10, v2
	v_mov_b32_e32 v8, v4
	v_mov_b32_e32 v4, v6
	v_addc_co_u32_e64 v51, s[0:1], v11, v3, s[0:1]
	v_lshlrev_b64 v[2:3], 3, v[7:8]
	v_mad_u64_u32 v[6:7], s[0:1], s3, v9, v[4:5]
	v_add_u32_e32 v9, 0x1cb, v36
	;; [unrolled: 15-line block ×5, first 2 shown]
	v_mad_u64_u32 v[7:8], s[0:1], s2, v9, 0
	v_add_co_u32_e64 v64, s[0:1], v10, v2
	v_mov_b32_e32 v4, v8
	v_addc_co_u32_e64 v65, s[0:1], v11, v3, s[0:1]
	v_lshlrev_b64 v[2:3], 3, v[5:6]
	v_mad_u64_u32 v[4:5], s[0:1], s3, v9, v[4:5]
	v_add_u32_e32 v9, 0x330, v36
	v_mad_u64_u32 v[5:6], s[0:1], s2, v9, 0
	v_add_co_u32_e64 v66, s[0:1], v10, v2
	v_mov_b32_e32 v8, v4
	v_mov_b32_e32 v4, v6
	v_addc_co_u32_e64 v67, s[0:1], v11, v3, s[0:1]
	v_lshlrev_b64 v[2:3], 3, v[7:8]
	v_mad_u64_u32 v[6:7], s[0:1], s3, v9, v[4:5]
	v_add_co_u32_e64 v68, s[0:1], v10, v2
	v_addc_co_u32_e64 v69, s[0:1], v11, v3, s[0:1]
	v_lshlrev_b64 v[2:3], 3, v[5:6]
	v_add_co_u32_e64 v70, s[0:1], v10, v2
	v_addc_co_u32_e64 v71, s[0:1], v11, v3, s[0:1]
	global_load_dwordx2 v[30:31], v[28:29], off
	global_load_dwordx2 v[32:33], v[34:35], off
	;; [unrolled: 1-line block ×15, first 2 shown]
                                        ; kill: killed $vgpr60 killed $vgpr61
                                        ; kill: killed $vgpr28 killed $vgpr29
                                        ; kill: killed $vgpr50 killed $vgpr51
                                        ; kill: killed $vgpr44 killed $vgpr45
                                        ; kill: killed $vgpr64 killed $vgpr65
                                        ; kill: killed $vgpr54 killed $vgpr55
                                        ; kill: killed $vgpr46 killed $vgpr47
                                        ; kill: killed $vgpr58 killed $vgpr59
                                        ; kill: killed $vgpr48 killed $vgpr49
                                        ; kill: killed $vgpr62 killed $vgpr63
                                        ; kill: killed $vgpr52 killed $vgpr53
                                        ; kill: killed $vgpr34 killed $vgpr35
                                        ; kill: killed $vgpr66 killed $vgpr67
                                        ; kill: killed $vgpr56 killed $vgpr57
                                        ; kill: killed $vgpr42 killed $vgpr43
	global_load_dwordx2 v[28:29], v[68:69], off
	global_load_dwordx2 v[34:35], v[70:71], off
	v_mov_b32_e32 v42, v38
.LBB0_13:
	s_or_b64 exec, exec, s[4:5]
	s_waitcnt vmcnt(15)
	v_add_f32_e32 v43, v32, v30
	v_add_f32_e32 v44, v33, v31
	s_waitcnt vmcnt(14)
	v_add_f32_e32 v43, v26, v43
	v_add_f32_e32 v44, v27, v44
	;; [unrolled: 3-line block ×15, first 2 shown]
	s_waitcnt vmcnt(0)
	v_add_f32_e32 v46, v33, v35
	v_sub_f32_e32 v33, v33, v35
	v_add_f32_e32 v44, v34, v43
	v_add_f32_e32 v43, v35, v45
	v_add_f32_e32 v45, v32, v34
	v_sub_f32_e32 v32, v32, v34
	v_mul_f32_e32 v34, 0xbeb8f4ab, v33
	v_mul_f32_e32 v49, 0xbf2c7751, v33
	;; [unrolled: 1-line block ×8, first 2 shown]
	s_mov_b32 s0, 0x3f6eb680
	v_mov_b32_e32 v35, v34
	s_mov_b32 s1, 0x3f3d2fb0
	v_mov_b32_e32 v50, v49
	;; [unrolled: 2-line block ×8, first 2 shown]
	v_fmac_f32_e32 v35, 0x3f6eb680, v45
	v_mul_f32_e32 v47, 0xbeb8f4ab, v32
	v_fma_f32 v34, v45, s0, -v34
	v_fmac_f32_e32 v50, 0x3f3d2fb0, v45
	v_mul_f32_e32 v51, 0xbf2c7751, v32
	v_fma_f32 v49, v45, s1, -v49
	;; [unrolled: 3-line block ×8, first 2 shown]
	v_add_f32_e32 v35, v35, v30
	v_fma_f32 v48, v46, s0, -v47
	v_add_f32_e32 v34, v34, v30
	v_fmac_f32_e32 v47, 0x3f6eb680, v46
	v_add_f32_e32 v50, v50, v30
	v_fma_f32 v52, v46, s1, -v51
	v_add_f32_e32 v49, v49, v30
	v_fmac_f32_e32 v51, 0x3f3d2fb0, v46
	;; [unrolled: 4-line block ×8, first 2 shown]
	v_add_f32_e32 v33, v27, v29
	v_sub_f32_e32 v27, v27, v29
	v_add_f32_e32 v48, v48, v31
	v_add_f32_e32 v47, v47, v31
	v_add_f32_e32 v52, v52, v31
	v_add_f32_e32 v51, v51, v31
	v_add_f32_e32 v56, v56, v31
	v_add_f32_e32 v55, v55, v31
	v_add_f32_e32 v60, v60, v31
	v_add_f32_e32 v59, v59, v31
	v_add_f32_e32 v64, v64, v31
	v_add_f32_e32 v63, v63, v31
	v_add_f32_e32 v68, v68, v31
	v_add_f32_e32 v67, v67, v31
	v_add_f32_e32 v72, v72, v31
	v_add_f32_e32 v71, v71, v31
	v_add_f32_e32 v74, v74, v31
	v_add_f32_e32 v31, v32, v31
	v_add_f32_e32 v32, v26, v28
	v_sub_f32_e32 v26, v26, v28
	v_mul_f32_e32 v28, 0xbf2c7751, v27
	v_mov_b32_e32 v29, v28
	v_fmac_f32_e32 v29, 0x3f3d2fb0, v32
	v_add_f32_e32 v29, v29, v35
	v_mul_f32_e32 v35, 0xbf2c7751, v26
	v_fma_f32 v45, v33, s1, -v35
	v_fma_f32 v28, v32, s1, -v28
	v_fmac_f32_e32 v35, 0x3f3d2fb0, v33
	v_add_f32_e32 v28, v28, v34
	v_add_f32_e32 v34, v35, v47
	v_mul_f32_e32 v35, 0xbf7ee86f, v27
	v_mov_b32_e32 v46, v35
	v_fma_f32 v35, v32, s5, -v35
	v_fmac_f32_e32 v46, 0x3dbcf732, v32
	v_mul_f32_e32 v47, 0xbf7ee86f, v26
	v_add_f32_e32 v35, v35, v49
	v_mul_f32_e32 v49, 0xbf4c4adb, v27
	v_add_f32_e32 v45, v45, v48
	v_add_f32_e32 v46, v46, v50
	v_fma_f32 v48, v33, s5, -v47
	v_fmac_f32_e32 v47, 0x3dbcf732, v33
	v_mov_b32_e32 v50, v49
	v_fma_f32 v49, v32, s7, -v49
	v_add_f32_e32 v47, v47, v51
	v_fmac_f32_e32 v50, 0xbf1a4643, v32
	v_mul_f32_e32 v51, 0xbf4c4adb, v26
	v_add_f32_e32 v49, v49, v53
	v_mul_f32_e32 v53, 0xbe3c28d5, v27
	v_add_f32_e32 v48, v48, v52
	v_add_f32_e32 v50, v50, v54
	v_fma_f32 v52, v33, s7, -v51
	v_fmac_f32_e32 v51, 0xbf1a4643, v33
	v_mov_b32_e32 v54, v53
	v_fma_f32 v53, v32, s11, -v53
	v_add_f32_e32 v51, v51, v55
	;; [unrolled: 11-line block ×4, first 2 shown]
	v_fmac_f32_e32 v62, 0xbe8c1d8e, v32
	v_mul_f32_e32 v63, 0x3f763a35, v26
	v_add_f32_e32 v61, v61, v65
	v_mul_f32_e32 v65, 0x3f65296c, v27
	v_add_f32_e32 v60, v60, v64
	v_add_f32_e32 v62, v62, v66
	v_fma_f32 v64, v33, s6, -v63
	v_fmac_f32_e32 v63, 0xbe8c1d8e, v33
	v_mov_b32_e32 v66, v65
	v_add_f32_e32 v63, v63, v67
	v_fmac_f32_e32 v66, 0x3ee437d1, v32
	v_mul_f32_e32 v67, 0x3f65296c, v26
	v_mul_f32_e32 v26, 0x3eb8f4ab, v26
	v_add_f32_e32 v66, v66, v70
	v_fma_f32 v65, v32, s4, -v65
	v_mul_f32_e32 v27, 0x3eb8f4ab, v27
	v_fma_f32 v70, v33, s0, -v26
	v_fmac_f32_e32 v26, 0x3f6eb680, v33
	v_add_f32_e32 v65, v65, v69
	v_mov_b32_e32 v69, v27
	v_fma_f32 v27, v32, s0, -v27
	v_add_f32_e32 v26, v26, v31
	v_add_f32_e32 v31, v23, v25
	v_sub_f32_e32 v23, v23, v25
	v_add_f32_e32 v27, v27, v30
	v_add_f32_e32 v30, v22, v24
	v_sub_f32_e32 v22, v22, v24
	v_mul_f32_e32 v24, 0xbf65296c, v23
	v_mov_b32_e32 v25, v24
	v_fmac_f32_e32 v25, 0x3ee437d1, v30
	v_add_f32_e32 v25, v25, v29
	v_mul_f32_e32 v29, 0xbf65296c, v22
	v_fmac_f32_e32 v69, 0x3f6eb680, v32
	v_fma_f32 v32, v31, s4, -v29
	v_fma_f32 v24, v30, s4, -v24
	v_fmac_f32_e32 v29, 0x3ee437d1, v31
	v_add_f32_e32 v24, v24, v28
	v_add_f32_e32 v28, v29, v34
	v_mul_f32_e32 v29, 0xbf4c4adb, v23
	v_add_f32_e32 v64, v64, v68
	v_fma_f32 v68, v33, s4, -v67
	v_fmac_f32_e32 v67, 0x3ee437d1, v33
	v_mov_b32_e32 v33, v29
	v_fma_f32 v29, v30, s7, -v29
	v_fmac_f32_e32 v33, 0xbf1a4643, v30
	v_mul_f32_e32 v34, 0xbf4c4adb, v22
	v_add_f32_e32 v29, v29, v35
	v_mul_f32_e32 v35, 0x3e3c28d5, v23
	v_add_f32_e32 v32, v32, v45
	v_add_f32_e32 v33, v33, v46
	v_fma_f32 v45, v31, s7, -v34
	v_fmac_f32_e32 v34, 0xbf1a4643, v31
	v_mov_b32_e32 v46, v35
	v_fma_f32 v35, v30, s11, -v35
	v_add_f32_e32 v34, v34, v47
	v_fmac_f32_e32 v46, 0xbf7ba420, v30
	v_mul_f32_e32 v47, 0x3e3c28d5, v22
	v_add_f32_e32 v35, v35, v49
	v_mul_f32_e32 v49, 0x3f763a35, v23
	v_add_f32_e32 v45, v45, v48
	v_add_f32_e32 v46, v46, v50
	v_fma_f32 v48, v31, s11, -v47
	v_fmac_f32_e32 v47, 0xbf7ba420, v31
	v_mov_b32_e32 v50, v49
	v_fma_f32 v49, v30, s6, -v49
	v_add_f32_e32 v47, v47, v51
	;; [unrolled: 11-line block ×4, first 2 shown]
	v_fmac_f32_e32 v58, 0x3f6eb680, v30
	v_mul_f32_e32 v59, 0xbeb8f4ab, v22
	v_add_f32_e32 v57, v57, v61
	v_mul_f32_e32 v61, 0xbf7ee86f, v23
	v_add_f32_e32 v56, v56, v60
	v_add_f32_e32 v58, v58, v62
	v_fma_f32 v60, v31, s0, -v59
	v_fmac_f32_e32 v59, 0x3f6eb680, v31
	v_mov_b32_e32 v62, v61
	v_fma_f32 v61, v30, s5, -v61
	v_mul_f32_e32 v23, 0xbf06c442, v23
	v_add_f32_e32 v59, v59, v63
	v_fmac_f32_e32 v62, 0x3dbcf732, v30
	v_mul_f32_e32 v63, 0xbf7ee86f, v22
	v_add_f32_e32 v61, v61, v65
	v_mov_b32_e32 v65, v23
	v_mul_f32_e32 v22, 0xbf06c442, v22
	v_fma_f32 v23, v30, s10, -v23
	v_add_f32_e32 v62, v62, v66
	v_fma_f32 v66, v31, s10, -v22
	v_add_f32_e32 v23, v23, v27
	v_fmac_f32_e32 v22, 0xbf59a7d5, v31
	v_add_f32_e32 v27, v19, v21
	v_sub_f32_e32 v19, v19, v21
	v_add_f32_e32 v22, v22, v26
	v_add_f32_e32 v26, v18, v20
	v_sub_f32_e32 v18, v18, v20
	v_mul_f32_e32 v20, 0xbf7ee86f, v19
	v_mov_b32_e32 v21, v20
	v_fmac_f32_e32 v21, 0x3dbcf732, v26
	v_add_f32_e32 v21, v21, v25
	v_mul_f32_e32 v25, 0xbf7ee86f, v18
	v_fmac_f32_e32 v65, 0xbf59a7d5, v30
	v_fma_f32 v30, v27, s5, -v25
	v_fma_f32 v20, v26, s5, -v20
	v_fmac_f32_e32 v25, 0x3dbcf732, v27
	v_add_f32_e32 v60, v60, v64
	v_fma_f32 v64, v31, s5, -v63
	v_fmac_f32_e32 v63, 0x3dbcf732, v31
	v_add_f32_e32 v20, v20, v24
	v_add_f32_e32 v24, v25, v28
	v_mul_f32_e32 v25, 0xbe3c28d5, v19
	v_mul_f32_e32 v31, 0xbe3c28d5, v18
	v_add_f32_e32 v30, v30, v32
	v_mov_b32_e32 v28, v25
	v_fma_f32 v32, v27, s11, -v31
	v_fma_f32 v25, v26, s11, -v25
	v_fmac_f32_e32 v31, 0xbf7ba420, v27
	v_fmac_f32_e32 v28, 0xbf7ba420, v26
	v_add_f32_e32 v25, v25, v29
	v_add_f32_e32 v29, v31, v34
	v_mul_f32_e32 v31, 0x3f763a35, v19
	v_add_f32_e32 v28, v28, v33
	v_mov_b32_e32 v33, v31
	v_fma_f32 v31, v26, s6, -v31
	v_fmac_f32_e32 v33, 0xbe8c1d8e, v26
	v_add_f32_e32 v31, v31, v35
	v_mul_f32_e32 v35, 0x3eb8f4ab, v19
	v_add_f32_e32 v33, v33, v46
	v_mov_b32_e32 v46, v35
	v_fma_f32 v35, v26, s0, -v35
	v_fmac_f32_e32 v46, 0x3f6eb680, v26
	v_add_f32_e32 v35, v35, v49
	v_mul_f32_e32 v49, 0xbf65296c, v19
	v_mul_f32_e32 v34, 0x3f763a35, v18
	v_add_f32_e32 v46, v46, v50
	v_mov_b32_e32 v50, v49
	v_fma_f32 v49, v26, s4, -v49
	v_add_f32_e32 v32, v32, v45
	v_fma_f32 v45, v27, s6, -v34
	v_fmac_f32_e32 v34, 0xbe8c1d8e, v27
	v_fmac_f32_e32 v50, 0x3ee437d1, v26
	v_add_f32_e32 v49, v49, v53
	v_mul_f32_e32 v53, 0xbf06c442, v19
	v_add_f32_e32 v34, v34, v47
	v_mul_f32_e32 v47, 0x3eb8f4ab, v18
	v_add_f32_e32 v50, v50, v54
	v_mov_b32_e32 v54, v53
	v_fma_f32 v53, v26, s10, -v53
	v_add_f32_e32 v45, v45, v48
	v_fma_f32 v48, v27, s0, -v47
	v_fmac_f32_e32 v47, 0x3f6eb680, v27
	v_fmac_f32_e32 v54, 0xbf59a7d5, v26
	v_add_f32_e32 v53, v53, v57
	v_mul_f32_e32 v57, 0x3f4c4adb, v19
	v_add_f32_e32 v47, v47, v51
	v_mul_f32_e32 v51, 0xbf65296c, v18
	v_add_f32_e32 v54, v54, v58
	v_mov_b32_e32 v58, v57
	v_fma_f32 v57, v26, s7, -v57
	v_mul_f32_e32 v19, 0x3f2c7751, v19
	v_add_f32_e32 v68, v68, v72
	v_add_f32_e32 v69, v69, v73
	;; [unrolled: 1-line block ×3, first 2 shown]
	v_fma_f32 v52, v27, s4, -v51
	v_fmac_f32_e32 v51, 0x3ee437d1, v27
	v_add_f32_e32 v57, v57, v61
	v_mov_b32_e32 v61, v19
	v_add_f32_e32 v67, v67, v71
	v_add_f32_e32 v64, v64, v68
	;; [unrolled: 1-line block ×4, first 2 shown]
	v_mul_f32_e32 v55, 0xbf06c442, v18
	v_fmac_f32_e32 v61, 0x3f3d2fb0, v26
	v_sub_f32_e32 v68, v15, v17
	v_add_f32_e32 v63, v63, v67
	v_add_f32_e32 v52, v52, v56
	v_fma_f32 v56, v27, s10, -v55
	v_fmac_f32_e32 v55, 0xbf59a7d5, v27
	v_add_f32_e32 v61, v61, v65
	v_add_f32_e32 v65, v14, v16
	v_sub_f32_e32 v67, v14, v16
	v_mul_f32_e32 v16, 0xbf763a35, v68
	v_add_f32_e32 v55, v55, v59
	v_fmac_f32_e32 v58, 0xbf1a4643, v26
	v_mul_f32_e32 v59, 0x3f4c4adb, v18
	v_mul_f32_e32 v18, 0x3f2c7751, v18
	v_mov_b32_e32 v14, v16
	v_fma_f32 v16, v65, s6, -v16
	v_add_f32_e32 v56, v56, v60
	v_add_f32_e32 v58, v58, v62
	v_fma_f32 v60, v27, s7, -v59
	v_fma_f32 v62, v27, s1, -v18
	v_fmac_f32_e32 v18, 0x3f3d2fb0, v27
	v_add_f32_e32 v16, v16, v20
	v_mul_f32_e32 v20, 0x3f06c442, v68
	v_add_f32_e32 v60, v60, v64
	v_add_f32_e32 v64, v18, v22
	v_mov_b32_e32 v18, v20
	v_fmac_f32_e32 v18, 0xbf59a7d5, v65
	v_add_f32_e32 v18, v18, v28
	v_mul_f32_e32 v28, 0xbf65296c, v68
	v_add_f32_e32 v70, v70, v74
	v_fma_f32 v19, v26, s1, -v19
	v_mov_b32_e32 v26, v28
	v_add_f32_e32 v66, v66, v70
	v_fmac_f32_e32 v26, 0x3ee437d1, v65
	v_add_f32_e32 v62, v62, v66
	v_add_f32_e32 v66, v15, v17
	v_fmac_f32_e32 v14, 0xbe8c1d8e, v65
	v_add_f32_e32 v26, v26, v46
	v_fma_f32 v28, v65, s4, -v28
	v_mul_f32_e32 v46, 0x3f7ee86f, v67
	v_fmac_f32_e32 v59, 0xbf1a4643, v27
	v_add_f32_e32 v14, v14, v21
	v_mul_f32_e32 v21, 0x3f06c442, v67
	v_add_f32_e32 v28, v28, v35
	v_fma_f32 v35, v66, s5, -v46
	v_fmac_f32_e32 v46, 0x3dbcf732, v66
	v_add_f32_e32 v59, v59, v63
	v_add_f32_e32 v63, v19, v23
	v_mul_f32_e32 v17, 0xbf763a35, v67
	v_fma_f32 v19, v66, s10, -v21
	v_add_f32_e32 v46, v46, v55
	v_add_f32_e32 v55, v11, v13
	v_sub_f32_e32 v11, v11, v13
	v_fma_f32 v15, v66, s6, -v17
	v_add_f32_e32 v19, v19, v32
	v_fmac_f32_e32 v21, 0xbf59a7d5, v66
	v_mul_f32_e32 v32, 0xbe3c28d5, v68
	v_add_f32_e32 v35, v35, v56
	v_add_f32_e32 v56, v10, v12
	v_sub_f32_e32 v10, v10, v12
	v_mul_f32_e32 v12, 0xbf4c4adb, v11
	v_add_f32_e32 v15, v15, v30
	v_add_f32_e32 v21, v21, v29
	v_mul_f32_e32 v29, 0xbf65296c, v67
	v_mov_b32_e32 v30, v32
	v_fma_f32 v32, v65, s11, -v32
	v_mov_b32_e32 v13, v12
	v_fma_f32 v27, v66, s4, -v29
	v_fmac_f32_e32 v29, 0x3ee437d1, v66
	v_add_f32_e32 v32, v32, v49
	v_mul_f32_e32 v49, 0xbeb8f4ab, v68
	v_fmac_f32_e32 v13, 0xbf1a4643, v56
	v_fmac_f32_e32 v17, 0xbe8c1d8e, v66
	v_add_f32_e32 v29, v29, v47
	v_mov_b32_e32 v47, v49
	v_fma_f32 v49, v65, s0, -v49
	v_add_f32_e32 v13, v13, v14
	v_mul_f32_e32 v14, 0xbf4c4adb, v10
	v_fma_f32 v12, v56, s7, -v12
	v_add_f32_e32 v17, v17, v24
	v_add_f32_e32 v49, v49, v57
	v_fma_f32 v57, v55, s7, -v14
	v_add_f32_e32 v12, v12, v16
	v_fmac_f32_e32 v14, 0xbf1a4643, v55
	v_mul_f32_e32 v16, 0x3f763a35, v11
	v_add_f32_e32 v14, v14, v17
	v_mov_b32_e32 v17, v16
	v_fma_f32 v20, v65, s10, -v20
	v_fmac_f32_e32 v17, 0xbe8c1d8e, v56
	v_add_f32_e32 v20, v20, v25
	v_mul_f32_e32 v24, 0x3f2c7751, v68
	v_add_f32_e32 v17, v17, v18
	v_mul_f32_e32 v18, 0x3f763a35, v10
	v_fma_f32 v16, v56, s6, -v16
	v_mov_b32_e32 v22, v24
	v_add_f32_e32 v15, v57, v15
	v_fma_f32 v57, v55, s6, -v18
	v_add_f32_e32 v16, v16, v20
	v_fmac_f32_e32 v18, 0xbe8c1d8e, v55
	v_mul_f32_e32 v20, 0xbeb8f4ab, v11
	v_fmac_f32_e32 v22, 0x3f3d2fb0, v65
	v_add_f32_e32 v18, v18, v21
	v_mov_b32_e32 v21, v20
	v_add_f32_e32 v22, v22, v33
	v_mul_f32_e32 v25, 0x3f2c7751, v67
	v_fma_f32 v24, v65, s1, -v24
	v_fmac_f32_e32 v21, 0x3f6eb680, v56
	v_fma_f32 v23, v66, s1, -v25
	v_add_f32_e32 v24, v24, v31
	v_fmac_f32_e32 v25, 0x3f3d2fb0, v66
	v_add_f32_e32 v21, v21, v22
	v_mul_f32_e32 v22, 0xbeb8f4ab, v10
	v_fma_f32 v20, v56, s0, -v20
	v_add_f32_e32 v25, v25, v34
	v_add_f32_e32 v19, v57, v19
	v_fma_f32 v57, v55, s0, -v22
	v_add_f32_e32 v20, v20, v24
	v_fmac_f32_e32 v22, 0x3f6eb680, v55
	v_mul_f32_e32 v24, 0xbf06c442, v11
	v_add_f32_e32 v22, v22, v25
	v_mov_b32_e32 v25, v24
	v_fmac_f32_e32 v25, 0xbf59a7d5, v56
	v_add_f32_e32 v23, v23, v45
	v_add_f32_e32 v25, v25, v26
	v_mul_f32_e32 v26, 0xbf06c442, v10
	v_fma_f32 v24, v56, s10, -v24
	v_add_f32_e32 v23, v57, v23
	v_fma_f32 v57, v55, s10, -v26
	v_add_f32_e32 v24, v24, v28
	v_fmac_f32_e32 v26, 0xbf59a7d5, v55
	v_mul_f32_e32 v28, 0x3f7ee86f, v11
	v_fmac_f32_e32 v30, 0xbf7ba420, v65
	v_add_f32_e32 v26, v26, v29
	v_mov_b32_e32 v29, v28
	v_add_f32_e32 v30, v30, v50
	v_mul_f32_e32 v33, 0xbe3c28d5, v67
	v_fmac_f32_e32 v29, 0x3dbcf732, v56
	v_add_f32_e32 v27, v27, v48
	v_fma_f32 v31, v66, s11, -v33
	v_fmac_f32_e32 v33, 0xbf7ba420, v66
	v_mul_f32_e32 v45, 0x3f7ee86f, v68
	v_add_f32_e32 v29, v29, v30
	v_mul_f32_e32 v30, 0x3f7ee86f, v10
	v_fma_f32 v28, v56, s5, -v28
	v_add_f32_e32 v33, v33, v51
	v_mov_b32_e32 v34, v45
	v_add_f32_e32 v27, v57, v27
	v_fma_f32 v57, v55, s5, -v30
	v_add_f32_e32 v28, v28, v32
	v_fmac_f32_e32 v30, 0x3dbcf732, v55
	v_mul_f32_e32 v32, 0xbf2c7751, v11
	v_fmac_f32_e32 v34, 0x3dbcf732, v65
	v_add_f32_e32 v30, v30, v33
	v_mov_b32_e32 v33, v32
	v_add_f32_e32 v34, v34, v54
	v_fma_f32 v45, v65, s5, -v45
	v_fmac_f32_e32 v33, 0x3f3d2fb0, v56
	v_add_f32_e32 v31, v31, v52
	v_add_f32_e32 v45, v45, v53
	;; [unrolled: 1-line block ×3, first 2 shown]
	v_mul_f32_e32 v34, 0xbf2c7751, v10
	v_fma_f32 v32, v56, s1, -v32
	v_add_f32_e32 v31, v57, v31
	v_fma_f32 v57, v55, s1, -v34
	v_add_f32_e32 v32, v32, v45
	v_fmac_f32_e32 v34, 0x3f3d2fb0, v55
	v_mul_f32_e32 v45, 0xbe3c28d5, v11
	v_fmac_f32_e32 v47, 0x3f6eb680, v65
	v_mul_f32_e32 v53, 0xbf4c4adb, v68
	v_add_f32_e32 v34, v34, v46
	v_mov_b32_e32 v46, v45
	v_add_f32_e32 v47, v47, v58
	v_mul_f32_e32 v50, 0xbeb8f4ab, v67
	v_mov_b32_e32 v51, v53
	v_fmac_f32_e32 v46, 0xbf7ba420, v56
	v_fma_f32 v45, v56, s11, -v45
	v_mul_f32_e32 v11, 0x3f65296c, v11
	v_fma_f32 v48, v66, s0, -v50
	v_fmac_f32_e32 v50, 0x3f6eb680, v66
	v_fmac_f32_e32 v51, 0xbf1a4643, v65
	v_fma_f32 v53, v65, s7, -v53
	v_add_f32_e32 v46, v46, v47
	v_mul_f32_e32 v47, 0xbe3c28d5, v10
	v_add_f32_e32 v45, v45, v49
	v_mov_b32_e32 v49, v11
	v_add_f32_e32 v50, v50, v59
	v_add_f32_e32 v51, v51, v61
	;; [unrolled: 1-line block ×4, first 2 shown]
	v_fma_f32 v57, v55, s11, -v47
	v_fmac_f32_e32 v47, 0xbf7ba420, v55
	v_fmac_f32_e32 v49, 0x3ee437d1, v56
	v_mul_f32_e32 v10, 0x3f65296c, v10
	v_fma_f32 v11, v56, s4, -v11
	v_sub_f32_e32 v56, v7, v9
	v_mul_f32_e32 v54, 0xbf4c4adb, v67
	v_add_f32_e32 v47, v47, v50
	v_add_f32_e32 v49, v49, v51
	v_fma_f32 v50, v55, s4, -v10
	v_add_f32_e32 v51, v11, v53
	v_fmac_f32_e32 v10, 0x3ee437d1, v55
	v_add_f32_e32 v53, v6, v8
	v_sub_f32_e32 v55, v6, v8
	v_mul_f32_e32 v8, 0xbf06c442, v56
	v_fma_f32 v52, v66, s7, -v54
	v_fmac_f32_e32 v54, 0xbf1a4643, v66
	v_mov_b32_e32 v6, v8
	v_fma_f32 v8, v53, s10, -v8
	v_add_f32_e32 v52, v52, v62
	v_add_f32_e32 v54, v54, v64
	;; [unrolled: 1-line block ×3, first 2 shown]
	v_mul_f32_e32 v12, 0x3f65296c, v56
	v_add_f32_e32 v50, v50, v52
	v_add_f32_e32 v52, v10, v54
	;; [unrolled: 1-line block ×3, first 2 shown]
	v_mul_f32_e32 v9, 0xbf06c442, v55
	v_mov_b32_e32 v10, v12
	v_fma_f32 v12, v53, s4, -v12
	v_fmac_f32_e32 v6, 0xbf59a7d5, v53
	v_fma_f32 v7, v54, s10, -v9
	v_fmac_f32_e32 v9, 0xbf59a7d5, v54
	v_add_f32_e32 v12, v12, v16
	v_mul_f32_e32 v16, 0xbf7ee86f, v56
	v_add_f32_e32 v6, v6, v13
	v_add_f32_e32 v9, v9, v14
	v_mul_f32_e32 v13, 0x3f65296c, v55
	v_mov_b32_e32 v14, v16
	v_fma_f32 v16, v53, s5, -v16
	v_fmac_f32_e32 v10, 0x3ee437d1, v53
	v_fma_f32 v11, v54, s4, -v13
	v_fmac_f32_e32 v13, 0x3ee437d1, v54
	v_add_f32_e32 v16, v16, v20
	v_mul_f32_e32 v20, 0x3f4c4adb, v56
	v_add_f32_e32 v10, v10, v17
	v_add_f32_e32 v13, v13, v18
	v_mul_f32_e32 v17, 0xbf7ee86f, v55
	v_mov_b32_e32 v18, v20
	v_fma_f32 v20, v53, s7, -v20
	v_add_f32_e32 v7, v7, v15
	v_fmac_f32_e32 v14, 0x3dbcf732, v53
	v_fma_f32 v15, v54, s5, -v17
	v_fmac_f32_e32 v17, 0x3dbcf732, v54
	v_add_f32_e32 v20, v20, v24
	v_mul_f32_e32 v24, 0xbeb8f4ab, v56
	v_add_f32_e32 v14, v14, v21
	v_add_f32_e32 v17, v17, v22
	v_mul_f32_e32 v21, 0x3f4c4adb, v55
	v_mov_b32_e32 v22, v24
	v_fma_f32 v24, v53, s0, -v24
	v_add_f32_e32 v11, v11, v19
	;; [unrolled: 11-line block ×4, first 2 shown]
	v_fma_f32 v27, v54, s11, -v29
	v_fmac_f32_e32 v29, 0xbf7ba420, v54
	v_fmac_f32_e32 v30, 0x3f3d2fb0, v53
	v_add_f32_e32 v32, v32, v45
	v_mul_f32_e32 v45, 0xbf763a35, v56
	v_add_f32_e32 v29, v29, v34
	v_add_f32_e32 v30, v30, v46
	v_mov_b32_e32 v34, v45
	v_mul_f32_e32 v46, 0xbf763a35, v55
	v_fma_f32 v45, v53, s6, -v45
	v_add_f32_e32 v27, v27, v35
	v_fma_f32 v35, v54, s6, -v46
	v_add_f32_e32 v45, v45, v51
	v_add_f32_e32 v51, v3, v5
	v_sub_f32_e32 v3, v3, v5
	v_add_f32_e32 v35, v35, v50
	v_add_f32_e32 v50, v2, v4
	v_sub_f32_e32 v4, v2, v4
	v_mul_f32_e32 v2, 0xbe3c28d5, v3
	v_mov_b32_e32 v5, v2
	v_fmac_f32_e32 v46, 0xbe8c1d8e, v54
	v_fmac_f32_e32 v5, 0xbf7ba420, v50
	v_add_f32_e32 v46, v46, v52
	v_add_f32_e32 v52, v5, v6
	v_mul_f32_e32 v5, 0xbe3c28d5, v4
	v_fma_f32 v6, v51, s11, -v5
	v_fma_f32 v2, v50, s11, -v2
	v_fmac_f32_e32 v5, 0xbf7ba420, v51
	v_fmac_f32_e32 v34, 0xbe8c1d8e, v53
	v_add_f32_e32 v8, v2, v8
	v_add_f32_e32 v2, v5, v9
	v_mul_f32_e32 v5, 0x3eb8f4ab, v3
	v_add_f32_e32 v34, v34, v49
	v_add_f32_e32 v49, v6, v7
	v_mov_b32_e32 v6, v5
	v_fmac_f32_e32 v6, 0x3f6eb680, v50
	v_fmac_f32_e32 v26, 0xbf7ba420, v53
	v_add_f32_e32 v10, v6, v10
	v_mul_f32_e32 v6, 0x3eb8f4ab, v4
	v_add_f32_e32 v26, v26, v33
	v_mul_f32_e32 v33, 0x3f2c7751, v55
	v_fma_f32 v7, v51, s0, -v6
	v_fma_f32 v5, v50, s0, -v5
	v_fmac_f32_e32 v6, 0x3f6eb680, v51
	v_add_f32_e32 v23, v23, v31
	v_fma_f32 v31, v54, s1, -v33
	v_fmac_f32_e32 v33, 0x3f3d2fb0, v54
	v_add_f32_e32 v53, v5, v12
	v_add_f32_e32 v5, v6, v13
	v_mul_f32_e32 v6, 0xbf06c442, v3
	v_add_f32_e32 v33, v33, v47
	v_add_f32_e32 v47, v7, v11
	v_mov_b32_e32 v7, v6
	v_fmac_f32_e32 v7, 0xbf59a7d5, v50
	v_add_f32_e32 v48, v48, v60
	v_add_f32_e32 v14, v7, v14
	v_mul_f32_e32 v7, 0xbf06c442, v4
	v_add_f32_e32 v48, v57, v48
	v_fma_f32 v9, v51, s10, -v7
	v_fma_f32 v6, v50, s10, -v6
	v_fmac_f32_e32 v7, 0xbf59a7d5, v51
	v_add_f32_e32 v31, v31, v48
	v_add_f32_e32 v48, v9, v15
	;; [unrolled: 1-line block ×4, first 2 shown]
	v_mul_f32_e32 v7, 0x3f2c7751, v3
	v_mov_b32_e32 v9, v7
	v_fmac_f32_e32 v9, 0x3f3d2fb0, v50
	v_add_f32_e32 v54, v9, v18
	v_mul_f32_e32 v9, 0x3f2c7751, v4
	v_fma_f32 v11, v51, s1, -v9
	v_fma_f32 v7, v50, s1, -v7
	v_fmac_f32_e32 v9, 0x3f3d2fb0, v51
	v_add_f32_e32 v20, v7, v20
	v_add_f32_e32 v7, v9, v21
	v_mul_f32_e32 v9, 0xbf4c4adb, v3
	v_add_f32_e32 v19, v11, v19
	v_mov_b32_e32 v11, v9
	v_fmac_f32_e32 v11, 0xbf1a4643, v50
	v_add_f32_e32 v21, v11, v22
	v_mul_f32_e32 v11, 0xbf4c4adb, v4
	v_fma_f32 v12, v51, s7, -v11
	v_fma_f32 v9, v50, s7, -v9
	v_fmac_f32_e32 v11, 0xbf1a4643, v51
	v_add_f32_e32 v22, v12, v23
	v_add_f32_e32 v23, v9, v24
	;; [unrolled: 1-line block ×3, first 2 shown]
	v_mul_f32_e32 v11, 0x3f65296c, v3
	v_mov_b32_e32 v12, v11
	v_fmac_f32_e32 v12, 0x3ee437d1, v50
	v_add_f32_e32 v24, v12, v26
	v_mul_f32_e32 v12, 0x3f65296c, v4
	v_fma_f32 v13, v51, s4, -v12
	v_fma_f32 v11, v50, s4, -v11
	v_fmac_f32_e32 v12, 0x3ee437d1, v51
	v_add_f32_e32 v25, v11, v28
	v_add_f32_e32 v11, v12, v29
	v_mul_f32_e32 v12, 0xbf763a35, v3
	v_add_f32_e32 v17, v13, v27
	v_mov_b32_e32 v13, v12
	v_fmac_f32_e32 v13, 0xbe8c1d8e, v50
	v_add_f32_e32 v26, v13, v30
	v_mul_f32_e32 v13, 0xbf763a35, v4
	v_fma_f32 v16, v51, s6, -v13
	v_fma_f32 v12, v50, s6, -v12
	v_fmac_f32_e32 v13, 0xbe8c1d8e, v51
	v_mul_f32_e32 v3, 0x3f7ee86f, v3
	v_add_f32_e32 v27, v12, v32
	v_add_f32_e32 v12, v13, v33
	v_mov_b32_e32 v13, v3
	v_fma_f32 v3, v50, s5, -v3
	s_movk_i32 s14, 0x44
	v_fmac_f32_e32 v13, 0x3dbcf732, v50
	v_add_f32_e32 v29, v3, v45
	v_mad_u32_u24 v3, v36, s14, 0
	v_add_f32_e32 v28, v13, v34
	v_mul_f32_e32 v4, 0x3f7ee86f, v4
	ds_write2_b32 v3, v44, v52 offset1:1
	ds_write2_b32 v3, v10, v14 offset0:2 offset1:3
	ds_write2_b32 v3, v54, v21 offset0:4 offset1:5
	;; [unrolled: 1-line block ×7, first 2 shown]
	ds_write_b32 v3, v8 offset:64
	v_lshlrev_b32_e32 v20, 6, v36
	v_fma_f32 v13, v51, s5, -v4
	v_fmac_f32_e32 v4, 0x3dbcf732, v51
	v_sub_u32_e32 v21, v3, v20
	v_add_f32_e32 v18, v16, v31
	v_add_f32_e32 v16, v4, v46
	v_lshl_add_u32 v14, v42, 2, 0
	v_add_u32_e32 v10, 0x400, v21
	v_add_u32_e32 v4, 0x600, v21
	;; [unrolled: 1-line block ×3, first 2 shown]
	s_movk_i32 s14, 0xf1
	v_add_f32_e32 v13, v13, v35
	s_waitcnt lgkmcnt(0)
	; wave barrier
	s_waitcnt lgkmcnt(0)
	v_lshl_add_u32 v24, v39, 2, 0
	v_lshl_add_u32 v25, v40, 2, 0
	;; [unrolled: 1-line block ×3, first 2 shown]
	ds_read_b32 v23, v14
	ds_read_b32 v33, v24
	;; [unrolled: 1-line block ×4, first 2 shown]
	v_lshl_add_u32 v15, v37, 2, 0
	ds_read_b32 v96, v21 offset:3264
	ds_read_b32 v50, v21
	ds_read_b32 v46, v15
	ds_read2_b32 v[31:32], v10 offset0:50 offset1:101
	ds_read2_b32 v[54:55], v10 offset0:152 offset1:203
	;; [unrolled: 1-line block ×5, first 2 shown]
	s_waitcnt lgkmcnt(0)
	; wave barrier
	s_waitcnt lgkmcnt(0)
	ds_write2_b32 v3, v43, v49 offset1:1
	ds_write2_b32 v3, v47, v48 offset0:2 offset1:3
	ds_write2_b32 v3, v19, v22 offset0:4 offset1:5
	ds_write2_b32 v3, v17, v18 offset0:6 offset1:7
	ds_write2_b32 v3, v13, v16 offset0:8 offset1:9
	ds_write2_b32 v3, v12, v11 offset0:10 offset1:11
	ds_write2_b32 v3, v9, v7 offset0:12 offset1:13
	ds_write2_b32 v3, v6, v5 offset0:14 offset1:15
	ds_write_b32 v3, v2 offset:64
	v_mul_lo_u16_sdwa v2, v36, s14 dst_sel:DWORD dst_unused:UNUSED_PAD src0_sel:BYTE_0 src1_sel:DWORD
	v_lshrrev_b16_e32 v6, 12, v2
	v_mul_lo_u16_e32 v2, 17, v6
	v_sub_u16_e32 v5, v36, v2
	v_mov_b32_e32 v2, 7
	v_lshlrev_b32_sdwa v2, v2, v5 dst_sel:DWORD dst_unused:UNUSED_PAD src0_sel:DWORD src1_sel:BYTE_0
	s_waitcnt lgkmcnt(0)
	; wave barrier
	s_waitcnt lgkmcnt(0)
	global_load_dwordx4 v[16:19], v2, s[8:9]
	global_load_dwordx4 v[27:30], v2, s[8:9] offset:16
	global_load_dwordx4 v[58:61], v2, s[8:9] offset:32
	;; [unrolled: 1-line block ×7, first 2 shown]
	ds_read_b32 v2, v14
	ds_read_b32 v7, v24
	;; [unrolled: 1-line block ×4, first 2 shown]
	ds_read_b32 v97, v21 offset:3264
	ds_read_b32 v51, v21
	ds_read_b32 v22, v15
	ds_read2_b32 v[11:12], v10 offset0:50 offset1:101
	ds_read2_b32 v[88:89], v10 offset0:152 offset1:203
	;; [unrolled: 1-line block ×5, first 2 shown]
	v_mul_u32_u24_e32 v6, 0x484, v6
	s_waitcnt lgkmcnt(0)
	; wave barrier
	s_waitcnt lgkmcnt(0)
	v_sub_u32_e32 v20, 0, v20
	s_waitcnt vmcnt(7)
	v_mul_f32_e32 v56, v2, v17
	v_mul_f32_e32 v17, v23, v17
	v_fma_f32 v57, v2, v16, -v17
	v_mul_f32_e32 v2, v33, v19
	v_fma_f32 v53, v7, v18, -v2
	s_waitcnt vmcnt(6)
	v_mul_f32_e32 v2, v34, v28
	v_fma_f32 v49, v9, v27, -v2
	v_mul_f32_e32 v2, v35, v30
	v_mul_f32_e32 v47, v9, v28
	v_fma_f32 v45, v13, v29, -v2
	s_waitcnt vmcnt(5)
	v_mul_f32_e32 v2, v46, v59
	v_fmac_f32_e32 v47, v34, v27
	v_fma_f32 v34, v22, v58, -v2
	v_mul_f32_e32 v2, v31, v61
	v_mul_f32_e32 v44, v13, v30
	v_fma_f32 v30, v11, v60, -v2
	s_waitcnt vmcnt(4)
	v_mul_f32_e32 v2, v32, v63
	v_fmac_f32_e32 v56, v23, v16
	v_fma_f32 v23, v12, v62, -v2
	v_mul_f32_e32 v2, v54, v65
	v_fma_f32 v17, v88, v64, -v2
	s_waitcnt vmcnt(3)
	v_mul_f32_e32 v2, v55, v67
	v_mul_f32_e32 v52, v7, v19
	v_fma_f32 v19, v89, v66, -v2
	v_mul_f32_e32 v2, v82, v69
	v_fmac_f32_e32 v52, v33, v18
	v_mul_f32_e32 v33, v22, v59
	v_mul_f32_e32 v22, v12, v63
	v_fma_f32 v28, v90, v68, -v2
	s_waitcnt vmcnt(2)
	v_mul_f32_e32 v2, v83, v71
	v_fmac_f32_e32 v22, v32, v62
	v_fma_f32 v32, v91, v70, -v2
	v_mul_f32_e32 v2, v84, v73
	v_fma_f32 v43, v92, v72, -v2
	s_waitcnt vmcnt(1)
	v_mul_f32_e32 v2, v85, v75
	v_mul_f32_e32 v18, v89, v67
	v_fma_f32 v48, v93, v74, -v2
	v_mul_f32_e32 v2, v86, v77
	v_fmac_f32_e32 v18, v55, v66
	v_fma_f32 v55, v94, v76, -v2
	s_waitcnt vmcnt(0)
	v_mul_f32_e32 v2, v87, v79
	v_fma_f32 v59, v95, v78, -v2
	v_mul_f32_e32 v2, v96, v81
	v_fmac_f32_e32 v44, v35, v29
	v_mul_f32_e32 v29, v11, v61
	v_fma_f32 v61, v97, v80, -v2
	v_add_f32_e32 v2, v50, v56
	v_add_f32_e32 v2, v2, v52
	;; [unrolled: 1-line block ×3, first 2 shown]
	v_fmac_f32_e32 v33, v46, v58
	v_add_f32_e32 v2, v2, v44
	v_fmac_f32_e32 v29, v31, v60
	v_add_f32_e32 v2, v2, v33
	v_mul_f32_e32 v16, v88, v65
	v_add_f32_e32 v2, v2, v29
	v_fmac_f32_e32 v16, v54, v64
	v_add_f32_e32 v2, v2, v22
	v_mul_f32_e32 v27, v90, v69
	v_add_f32_e32 v2, v2, v16
	v_fmac_f32_e32 v27, v82, v68
	v_mul_f32_e32 v31, v91, v71
	v_add_f32_e32 v2, v2, v18
	v_fmac_f32_e32 v31, v83, v70
	v_mul_f32_e32 v35, v92, v73
	v_add_f32_e32 v2, v2, v27
	v_fmac_f32_e32 v35, v84, v72
	v_mul_f32_e32 v46, v93, v75
	v_add_f32_e32 v2, v2, v31
	v_fmac_f32_e32 v46, v85, v74
	v_mul_f32_e32 v54, v94, v77
	v_add_f32_e32 v2, v2, v35
	v_fmac_f32_e32 v54, v86, v76
	v_mul_f32_e32 v58, v95, v79
	v_add_f32_e32 v2, v2, v46
	v_fmac_f32_e32 v58, v87, v78
	v_mul_f32_e32 v60, v97, v81
	v_add_f32_e32 v2, v2, v54
	v_sub_f32_e32 v9, v57, v61
	v_fmac_f32_e32 v60, v96, v80
	v_add_f32_e32 v2, v2, v58
	v_mul_f32_e32 v11, 0xbeb8f4ab, v9
	v_mul_f32_e32 v13, 0xbf2c7751, v9
	;; [unrolled: 1-line block ×8, first 2 shown]
	v_add_f32_e32 v7, v2, v60
	v_add_f32_e32 v2, v56, v60
	v_mov_b32_e32 v12, v11
	v_mov_b32_e32 v62, v13
	v_mov_b32_e32 v64, v63
	v_mov_b32_e32 v66, v65
	v_mov_b32_e32 v68, v67
	v_mov_b32_e32 v70, v69
	v_mov_b32_e32 v72, v71
	v_mov_b32_e32 v73, v9
	v_fmac_f32_e32 v12, 0x3f6eb680, v2
	v_fma_f32 v11, v2, s0, -v11
	v_fmac_f32_e32 v62, 0x3f3d2fb0, v2
	v_fma_f32 v13, v2, s1, -v13
	;; [unrolled: 2-line block ×8, first 2 shown]
	v_add_f32_e32 v12, v50, v12
	v_add_f32_e32 v11, v50, v11
	;; [unrolled: 1-line block ×16, first 2 shown]
	v_sub_f32_e32 v50, v53, v59
	v_add_f32_e32 v9, v52, v58
	v_mul_f32_e32 v74, 0xbf2c7751, v50
	v_mov_b32_e32 v75, v74
	v_fma_f32 v74, v9, s1, -v74
	v_fmac_f32_e32 v75, 0x3f3d2fb0, v9
	v_add_f32_e32 v11, v74, v11
	v_mul_f32_e32 v74, 0xbf7ee86f, v50
	v_add_f32_e32 v12, v75, v12
	v_mov_b32_e32 v75, v74
	v_fma_f32 v74, v9, s5, -v74
	v_fmac_f32_e32 v75, 0x3dbcf732, v9
	v_add_f32_e32 v13, v74, v13
	v_mul_f32_e32 v74, 0xbf4c4adb, v50
	v_add_f32_e32 v62, v75, v62
	v_mov_b32_e32 v75, v74
	v_fma_f32 v74, v9, s7, -v74
	v_fmac_f32_e32 v75, 0xbf1a4643, v9
	v_add_f32_e32 v63, v74, v63
	v_mul_f32_e32 v74, 0xbe3c28d5, v50
	v_add_f32_e32 v64, v75, v64
	v_mov_b32_e32 v75, v74
	v_fma_f32 v74, v9, s11, -v74
	v_fmac_f32_e32 v75, 0xbf7ba420, v9
	v_add_f32_e32 v65, v74, v65
	v_mul_f32_e32 v74, 0x3f06c442, v50
	v_add_f32_e32 v66, v75, v66
	v_mov_b32_e32 v75, v74
	v_fma_f32 v74, v9, s10, -v74
	v_fmac_f32_e32 v75, 0xbf59a7d5, v9
	v_add_f32_e32 v67, v74, v67
	v_mul_f32_e32 v74, 0x3f763a35, v50
	v_add_f32_e32 v68, v75, v68
	v_mov_b32_e32 v75, v74
	v_fma_f32 v74, v9, s6, -v74
	v_fmac_f32_e32 v75, 0xbe8c1d8e, v9
	v_add_f32_e32 v69, v74, v69
	v_mul_f32_e32 v74, 0x3f65296c, v50
	v_add_f32_e32 v70, v75, v70
	v_mov_b32_e32 v75, v74
	v_fma_f32 v74, v9, s4, -v74
	v_mul_f32_e32 v50, 0x3eb8f4ab, v50
	v_add_f32_e32 v71, v74, v71
	v_mov_b32_e32 v74, v50
	v_fmac_f32_e32 v75, 0x3ee437d1, v9
	v_fmac_f32_e32 v74, 0x3f6eb680, v9
	v_fma_f32 v9, v9, s0, -v50
	v_sub_f32_e32 v50, v49, v55
	v_add_f32_e32 v73, v74, v73
	v_add_f32_e32 v2, v9, v2
	v_add_f32_e32 v9, v47, v54
	v_mul_f32_e32 v74, 0xbf65296c, v50
	v_add_f32_e32 v72, v75, v72
	v_mov_b32_e32 v75, v74
	v_fma_f32 v74, v9, s4, -v74
	v_fmac_f32_e32 v75, 0x3ee437d1, v9
	v_add_f32_e32 v11, v74, v11
	v_mul_f32_e32 v74, 0xbf4c4adb, v50
	v_add_f32_e32 v12, v75, v12
	v_mov_b32_e32 v75, v74
	v_fma_f32 v74, v9, s7, -v74
	v_fmac_f32_e32 v75, 0xbf1a4643, v9
	v_add_f32_e32 v13, v74, v13
	v_mul_f32_e32 v74, 0x3e3c28d5, v50
	v_add_f32_e32 v62, v75, v62
	v_mov_b32_e32 v75, v74
	v_fma_f32 v74, v9, s11, -v74
	v_fmac_f32_e32 v75, 0xbf7ba420, v9
	v_add_f32_e32 v63, v74, v63
	v_mul_f32_e32 v74, 0x3f763a35, v50
	v_add_f32_e32 v64, v75, v64
	v_mov_b32_e32 v75, v74
	v_fma_f32 v74, v9, s6, -v74
	v_fmac_f32_e32 v75, 0xbe8c1d8e, v9
	v_add_f32_e32 v65, v74, v65
	v_mul_f32_e32 v74, 0x3f2c7751, v50
	v_add_f32_e32 v66, v75, v66
	v_mov_b32_e32 v75, v74
	v_fma_f32 v74, v9, s1, -v74
	v_fmac_f32_e32 v75, 0x3f3d2fb0, v9
	v_add_f32_e32 v67, v74, v67
	v_mul_f32_e32 v74, 0xbeb8f4ab, v50
	v_add_f32_e32 v68, v75, v68
	v_mov_b32_e32 v75, v74
	v_fma_f32 v74, v9, s0, -v74
	v_fmac_f32_e32 v75, 0x3f6eb680, v9
	v_add_f32_e32 v69, v74, v69
	v_mul_f32_e32 v74, 0xbf7ee86f, v50
	v_add_f32_e32 v70, v75, v70
	v_mov_b32_e32 v75, v74
	v_fma_f32 v74, v9, s5, -v74
	v_mul_f32_e32 v50, 0xbf06c442, v50
	v_add_f32_e32 v71, v74, v71
	v_mov_b32_e32 v74, v50
	v_fmac_f32_e32 v75, 0x3dbcf732, v9
	v_fmac_f32_e32 v74, 0xbf59a7d5, v9
	v_fma_f32 v9, v9, s10, -v50
	v_sub_f32_e32 v50, v45, v48
	v_add_f32_e32 v73, v74, v73
	v_add_f32_e32 v2, v9, v2
	v_add_f32_e32 v9, v44, v46
	v_mul_f32_e32 v74, 0xbf7ee86f, v50
	v_add_f32_e32 v72, v75, v72
	;; [unrolled: 50-line block ×5, first 2 shown]
	v_mov_b32_e32 v75, v74
	v_fma_f32 v74, v9, s10, -v74
	v_fmac_f32_e32 v75, 0xbf59a7d5, v9
	v_add_f32_e32 v11, v74, v11
	v_mul_f32_e32 v74, 0x3f65296c, v50
	v_add_f32_e32 v12, v75, v12
	v_mov_b32_e32 v75, v74
	v_fma_f32 v74, v9, s4, -v74
	v_fmac_f32_e32 v75, 0x3ee437d1, v9
	v_add_f32_e32 v13, v74, v13
	v_mul_f32_e32 v74, 0xbf7ee86f, v50
	v_add_f32_e32 v62, v75, v62
	;; [unrolled: 6-line block ×6, first 2 shown]
	v_mov_b32_e32 v75, v74
	v_fma_f32 v74, v9, s1, -v74
	v_mul_f32_e32 v50, 0xbf763a35, v50
	v_add_f32_e32 v71, v74, v71
	v_mov_b32_e32 v74, v50
	v_fmac_f32_e32 v75, 0x3f3d2fb0, v9
	v_fmac_f32_e32 v74, 0xbe8c1d8e, v9
	v_fma_f32 v9, v9, s6, -v50
	v_sub_f32_e32 v76, v17, v19
	v_add_f32_e32 v72, v75, v72
	v_add_f32_e32 v73, v74, v73
	;; [unrolled: 1-line block ×4, first 2 shown]
	v_mul_f32_e32 v2, 0xbe3c28d5, v76
	v_mov_b32_e32 v9, v2
	v_fma_f32 v2, v75, s11, -v2
	v_fmac_f32_e32 v9, 0xbf7ba420, v75
	v_add_f32_e32 v50, v2, v11
	v_mul_f32_e32 v2, 0x3eb8f4ab, v76
	v_add_f32_e32 v77, v9, v12
	v_mov_b32_e32 v9, v2
	v_fmac_f32_e32 v9, 0x3f6eb680, v75
	v_add_f32_e32 v78, v9, v62
	v_mul_f32_e32 v9, 0xbf06c442, v76
	v_mov_b32_e32 v11, v9
	v_fmac_f32_e32 v11, 0xbf59a7d5, v75
	v_add_f32_e32 v79, v11, v64
	v_mul_f32_e32 v11, 0x3f2c7751, v76
	v_mov_b32_e32 v12, v11
	v_fmac_f32_e32 v12, 0x3f3d2fb0, v75
	v_fma_f32 v2, v75, s0, -v2
	v_add_f32_e32 v80, v12, v66
	v_mul_f32_e32 v12, 0xbf4c4adb, v76
	v_add_f32_e32 v2, v2, v13
	v_mov_b32_e32 v13, v12
	v_fmac_f32_e32 v13, 0xbf1a4643, v75
	v_add_f32_e32 v68, v13, v68
	v_mul_f32_e32 v13, 0x3f65296c, v76
	v_mov_b32_e32 v62, v13
	v_fmac_f32_e32 v62, 0x3ee437d1, v75
	v_fma_f32 v9, v75, s10, -v9
	v_add_f32_e32 v66, v62, v70
	v_mul_f32_e32 v62, 0xbf763a35, v76
	v_add_f32_e32 v9, v9, v63
	v_mov_b32_e32 v63, v62
	v_fma_f32 v12, v75, s7, -v12
	v_fmac_f32_e32 v63, 0xbe8c1d8e, v75
	v_fma_f32 v62, v75, s6, -v62
	v_add_f32_e32 v12, v12, v67
	v_add_f32_e32 v67, v63, v72
	;; [unrolled: 1-line block ×3, first 2 shown]
	v_mul_f32_e32 v62, 0x3f7ee86f, v76
	v_fma_f32 v11, v75, s1, -v11
	v_mov_b32_e32 v64, v62
	v_fma_f32 v62, v75, s5, -v62
	v_add_f32_e32 v11, v11, v65
	v_add_f32_e32 v65, v62, v74
	v_mov_b32_e32 v62, 2
	v_lshlrev_b32_sdwa v5, v62, v5 dst_sel:DWORD dst_unused:UNUSED_PAD src0_sel:DWORD src1_sel:BYTE_0
	v_fma_f32 v13, v75, s4, -v13
	v_fmac_f32_e32 v64, 0x3dbcf732, v75
	v_add3_u32 v62, 0, v6, v5
	v_add_f32_e32 v13, v13, v69
	v_add_f32_e32 v64, v64, v73
	ds_write2_b32 v62, v7, v77 offset1:17
	ds_write2_b32 v62, v78, v79 offset0:34 offset1:51
	ds_write2_b32 v62, v80, v68 offset0:68 offset1:85
	;; [unrolled: 1-line block ×7, first 2 shown]
	ds_write_b32 v62, v50 offset:1088
	s_waitcnt lgkmcnt(0)
	; wave barrier
	s_waitcnt lgkmcnt(0)
	ds_read2_b32 v[6:7], v10 offset0:33 offset1:84
	ds_read2_b32 v[4:5], v4 offset0:109 offset1:194
	;; [unrolled: 1-line block ×4, first 2 shown]
	ds_read_b32 v65, v14
	ds_read_b32 v66, v24
	;; [unrolled: 1-line block ×3, first 2 shown]
	v_add_u32_e32 v12, 0xa00, v21
	ds_read2_b32 v[12:13], v12 offset0:91 offset1:142
	ds_read_b32 v64, v21
	ds_read_b32 v68, v26
	v_cmp_gt_u32_e64 s[0:1], 34, v36
	v_add_u32_e32 v69, v3, v20
                                        ; implicit-def: $vgpr63
	s_and_saveexec_b64 s[4:5], s[0:1]
	s_cbranch_execz .LBB0_15
; %bb.14:
	ds_read_b32 v2, v15
	ds_read_b32 v50, v69 offset:2176
	ds_read_b32 v63, v69 offset:3332
.LBB0_15:
	s_or_b64 exec, exec, s[4:5]
	v_add_f32_e32 v3, v51, v57
	v_add_f32_e32 v3, v3, v53
	v_add_f32_e32 v3, v3, v49
	v_add_f32_e32 v3, v3, v45
	v_add_f32_e32 v3, v3, v34
	v_add_f32_e32 v3, v3, v30
	v_add_f32_e32 v3, v3, v23
	v_add_f32_e32 v3, v3, v17
	v_add_f32_e32 v3, v3, v19
	v_add_f32_e32 v3, v3, v28
	v_add_f32_e32 v3, v3, v32
	v_add_f32_e32 v3, v3, v43
	v_add_f32_e32 v3, v3, v48
	v_add_f32_e32 v3, v3, v55
	v_add_f32_e32 v3, v3, v59
	v_add_f32_e32 v20, v3, v61
	v_add_f32_e32 v3, v57, v61
	v_sub_f32_e32 v21, v56, v60
	v_mul_f32_e32 v56, 0x3f6eb680, v3
	v_mul_f32_e32 v60, 0x3f3d2fb0, v3
	;; [unrolled: 1-line block ×8, first 2 shown]
	v_mov_b32_e32 v57, v56
	v_mov_b32_e32 v61, v60
	;; [unrolled: 1-line block ×8, first 2 shown]
	v_fmac_f32_e32 v57, 0x3eb8f4ab, v21
	v_fmac_f32_e32 v56, 0xbeb8f4ab, v21
	;; [unrolled: 1-line block ×16, first 2 shown]
	v_add_f32_e32 v21, v53, v59
	v_add_f32_e32 v57, v51, v57
	;; [unrolled: 1-line block ×17, first 2 shown]
	v_sub_f32_e32 v51, v52, v58
	v_mul_f32_e32 v52, 0x3f3d2fb0, v21
	v_mov_b32_e32 v53, v52
	v_fmac_f32_e32 v52, 0xbf2c7751, v51
	v_fmac_f32_e32 v53, 0x3f2c7751, v51
	v_add_f32_e32 v52, v52, v56
	v_mul_f32_e32 v56, 0x3dbcf732, v21
	v_add_f32_e32 v53, v53, v57
	v_mov_b32_e32 v57, v56
	v_fmac_f32_e32 v56, 0xbf7ee86f, v51
	v_mul_f32_e32 v58, 0xbf1a4643, v21
	v_fmac_f32_e32 v57, 0x3f7ee86f, v51
	v_add_f32_e32 v56, v56, v60
	v_mov_b32_e32 v59, v58
	v_fmac_f32_e32 v58, 0xbf4c4adb, v51
	v_mul_f32_e32 v60, 0xbf7ba420, v21
	v_add_f32_e32 v57, v57, v61
	v_fmac_f32_e32 v59, 0x3f4c4adb, v51
	v_add_f32_e32 v58, v58, v70
	v_mov_b32_e32 v61, v60
	v_fmac_f32_e32 v60, 0xbe3c28d5, v51
	v_mul_f32_e32 v70, 0xbf59a7d5, v21
	v_add_f32_e32 v59, v59, v71
	;; [unrolled: 6-line block ×3, first 2 shown]
	v_add_f32_e32 v70, v70, v74
	v_mov_b32_e32 v73, v72
	v_fmac_f32_e32 v72, 0x3f763a35, v51
	v_mul_f32_e32 v74, 0x3ee437d1, v21
	v_mul_f32_e32 v21, 0x3f6eb680, v21
	v_add_f32_e32 v72, v72, v76
	v_mov_b32_e32 v76, v21
	v_fmac_f32_e32 v21, 0x3eb8f4ab, v51
	v_fmac_f32_e32 v71, 0xbf06c442, v51
	v_add_f32_e32 v3, v21, v3
	v_add_f32_e32 v21, v49, v55
	;; [unrolled: 1-line block ×3, first 2 shown]
	v_mov_b32_e32 v75, v74
	v_sub_f32_e32 v47, v47, v54
	v_mul_f32_e32 v49, 0x3ee437d1, v21
	v_fmac_f32_e32 v73, 0xbf763a35, v51
	v_fmac_f32_e32 v75, 0xbf65296c, v51
	;; [unrolled: 1-line block ×4, first 2 shown]
	v_mov_b32_e32 v51, v49
	v_fmac_f32_e32 v49, 0xbf65296c, v47
	v_fmac_f32_e32 v51, 0x3f65296c, v47
	v_add_f32_e32 v49, v49, v52
	v_mul_f32_e32 v52, 0xbf1a4643, v21
	v_add_f32_e32 v51, v51, v53
	v_mov_b32_e32 v53, v52
	v_fmac_f32_e32 v52, 0xbf4c4adb, v47
	v_mul_f32_e32 v54, 0xbf7ba420, v21
	v_fmac_f32_e32 v53, 0x3f4c4adb, v47
	v_add_f32_e32 v52, v52, v56
	v_mov_b32_e32 v55, v54
	v_fmac_f32_e32 v54, 0x3e3c28d5, v47
	v_mul_f32_e32 v56, 0xbe8c1d8e, v21
	v_add_f32_e32 v53, v53, v57
	v_fmac_f32_e32 v55, 0xbe3c28d5, v47
	v_add_f32_e32 v54, v54, v58
	v_mov_b32_e32 v57, v56
	v_fmac_f32_e32 v56, 0x3f763a35, v47
	v_mul_f32_e32 v58, 0x3f3d2fb0, v21
	v_add_f32_e32 v55, v55, v59
	v_fmac_f32_e32 v57, 0xbf763a35, v47
	v_add_f32_e32 v56, v56, v60
	v_mov_b32_e32 v59, v58
	v_fmac_f32_e32 v58, 0x3f2c7751, v47
	v_mul_f32_e32 v60, 0x3f6eb680, v21
	v_add_f32_e32 v57, v57, v61
	v_add_f32_e32 v58, v58, v70
	v_mov_b32_e32 v61, v60
	v_fmac_f32_e32 v60, 0xbeb8f4ab, v47
	v_mul_f32_e32 v70, 0x3dbcf732, v21
	v_mul_f32_e32 v21, 0xbf59a7d5, v21
	v_add_f32_e32 v60, v60, v72
	v_mov_b32_e32 v72, v21
	v_fmac_f32_e32 v21, 0xbf06c442, v47
	v_fmac_f32_e32 v59, 0xbf2c7751, v47
	v_add_f32_e32 v3, v21, v3
	v_add_f32_e32 v21, v45, v48
	;; [unrolled: 1-line block ×3, first 2 shown]
	v_mov_b32_e32 v71, v70
	v_sub_f32_e32 v44, v44, v46
	v_mul_f32_e32 v45, 0x3dbcf732, v21
	v_fmac_f32_e32 v61, 0x3eb8f4ab, v47
	v_fmac_f32_e32 v71, 0x3f7ee86f, v47
	;; [unrolled: 1-line block ×4, first 2 shown]
	v_mov_b32_e32 v46, v45
	v_fmac_f32_e32 v45, 0xbf7ee86f, v44
	v_mul_f32_e32 v47, 0xbf7ba420, v21
	v_fmac_f32_e32 v46, 0x3f7ee86f, v44
	v_add_f32_e32 v45, v45, v49
	v_mov_b32_e32 v48, v47
	v_fmac_f32_e32 v47, 0xbe3c28d5, v44
	v_mul_f32_e32 v49, 0xbe8c1d8e, v21
	v_add_f32_e32 v46, v46, v51
	v_fmac_f32_e32 v48, 0x3e3c28d5, v44
	v_add_f32_e32 v47, v47, v52
	v_mov_b32_e32 v51, v49
	v_fmac_f32_e32 v49, 0x3f763a35, v44
	v_mul_f32_e32 v52, 0x3f6eb680, v21
	v_add_f32_e32 v48, v48, v53
	v_fmac_f32_e32 v51, 0xbf763a35, v44
	v_add_f32_e32 v49, v49, v54
	v_mov_b32_e32 v53, v52
	v_fmac_f32_e32 v52, 0x3eb8f4ab, v44
	v_mul_f32_e32 v54, 0x3ee437d1, v21
	v_add_f32_e32 v51, v51, v55
	v_fmac_f32_e32 v53, 0xbeb8f4ab, v44
	v_add_f32_e32 v52, v52, v56
	v_mov_b32_e32 v55, v54
	v_fmac_f32_e32 v54, 0xbf65296c, v44
	v_mul_f32_e32 v56, 0xbf59a7d5, v21
	v_add_f32_e32 v53, v53, v57
	v_add_f32_e32 v54, v54, v58
	v_mov_b32_e32 v57, v56
	v_fmac_f32_e32 v56, 0xbf06c442, v44
	v_mul_f32_e32 v58, 0xbf1a4643, v21
	v_mul_f32_e32 v21, 0x3f3d2fb0, v21
	v_add_f32_e32 v56, v56, v60
	v_mov_b32_e32 v60, v21
	v_fmac_f32_e32 v21, 0x3f2c7751, v44
	v_add_f32_e32 v3, v21, v3
	v_add_f32_e32 v21, v34, v43
	v_fmac_f32_e32 v55, 0x3f65296c, v44
	v_sub_f32_e32 v33, v33, v35
	v_mul_f32_e32 v34, 0xbe8c1d8e, v21
	v_add_f32_e32 v55, v55, v59
	v_mov_b32_e32 v59, v58
	v_mov_b32_e32 v35, v34
	v_fmac_f32_e32 v34, 0xbf763a35, v33
	v_mul_f32_e32 v43, 0xbf59a7d5, v21
	v_fmac_f32_e32 v57, 0x3f06c442, v44
	v_fmac_f32_e32 v59, 0xbf4c4adb, v44
	v_fmac_f32_e32 v58, 0x3f4c4adb, v44
	v_fmac_f32_e32 v60, 0xbf2c7751, v44
	v_fmac_f32_e32 v35, 0x3f763a35, v33
	v_add_f32_e32 v34, v34, v45
	v_mov_b32_e32 v44, v43
	v_fmac_f32_e32 v43, 0x3f06c442, v33
	v_mul_f32_e32 v45, 0x3f3d2fb0, v21
	v_add_f32_e32 v35, v35, v46
	v_fmac_f32_e32 v44, 0xbf06c442, v33
	v_add_f32_e32 v43, v43, v47
	v_mov_b32_e32 v46, v45
	v_fmac_f32_e32 v45, 0x3f2c7751, v33
	v_mul_f32_e32 v47, 0x3ee437d1, v21
	v_add_f32_e32 v44, v44, v48
	v_fmac_f32_e32 v46, 0xbf2c7751, v33
	v_add_f32_e32 v45, v45, v49
	v_mov_b32_e32 v48, v47
	v_fmac_f32_e32 v47, 0xbf65296c, v33
	v_mul_f32_e32 v49, 0xbf7ba420, v21
	v_add_f32_e32 v46, v46, v51
	v_fmac_f32_e32 v48, 0x3f65296c, v33
	v_add_f32_e32 v47, v47, v52
	v_mov_b32_e32 v51, v49
	v_fmac_f32_e32 v49, 0xbe3c28d5, v33
	v_mul_f32_e32 v52, 0x3dbcf732, v21
	v_add_f32_e32 v48, v48, v53
	v_add_f32_e32 v49, v49, v54
	v_mov_b32_e32 v53, v52
	v_fmac_f32_e32 v52, 0x3f7ee86f, v33
	v_mul_f32_e32 v54, 0x3f6eb680, v21
	v_mul_f32_e32 v21, 0xbf1a4643, v21
	v_add_f32_e32 v52, v52, v56
	v_mov_b32_e32 v56, v21
	v_fmac_f32_e32 v21, 0xbf4c4adb, v33
	v_add_f32_e32 v3, v21, v3
	v_add_f32_e32 v21, v30, v32
	v_fmac_f32_e32 v51, 0x3e3c28d5, v33
	v_sub_f32_e32 v29, v29, v31
	v_mul_f32_e32 v30, 0xbf1a4643, v21
	v_add_f32_e32 v51, v51, v55
	v_mov_b32_e32 v55, v54
	v_mov_b32_e32 v31, v30
	v_fmac_f32_e32 v30, 0xbf4c4adb, v29
	v_mul_f32_e32 v32, 0xbe8c1d8e, v21
	v_fmac_f32_e32 v53, 0xbf7ee86f, v33
	v_fmac_f32_e32 v55, 0x3eb8f4ab, v33
	v_fmac_f32_e32 v54, 0xbeb8f4ab, v33
	v_fmac_f32_e32 v56, 0x3f4c4adb, v33
	;; [unrolled: 46-line block ×3, first 2 shown]
	v_fmac_f32_e32 v27, 0x3f06c442, v22
	v_add_f32_e32 v23, v23, v30
	v_mov_b32_e32 v29, v28
	v_fmac_f32_e32 v28, 0x3f65296c, v22
	v_mul_f32_e32 v30, 0x3dbcf732, v21
	v_add_f32_e32 v27, v27, v31
	v_fmac_f32_e32 v29, 0xbf65296c, v22
	v_add_f32_e32 v28, v28, v32
	v_mov_b32_e32 v31, v30
	v_fmac_f32_e32 v30, 0xbf7ee86f, v22
	v_mul_f32_e32 v32, 0xbf1a4643, v21
	v_add_f32_e32 v29, v29, v33
	;; [unrolled: 6-line block ×4, first 2 shown]
	v_add_f32_e32 v34, v34, v45
	v_mov_b32_e32 v44, v43
	v_fmac_f32_e32 v43, 0xbe3c28d5, v22
	v_mul_f32_e32 v45, 0x3f3d2fb0, v21
	v_mul_f32_e32 v21, 0xbe8c1d8e, v21
	v_add_f32_e32 v43, v43, v47
	v_mov_b32_e32 v47, v21
	v_fmac_f32_e32 v21, 0xbf763a35, v22
	v_add_f32_e32 v17, v17, v19
	v_add_f32_e32 v21, v21, v3
	v_mul_f32_e32 v3, 0xbf7ba420, v17
	v_sub_f32_e32 v16, v16, v18
	v_mov_b32_e32 v18, v3
	v_fmac_f32_e32 v35, 0x3eb8f4ab, v22
	v_fmac_f32_e32 v18, 0x3e3c28d5, v16
	;; [unrolled: 1-line block ×3, first 2 shown]
	v_add_f32_e32 v35, v35, v46
	v_mov_b32_e32 v46, v45
	v_add_f32_e32 v18, v18, v27
	v_add_f32_e32 v27, v3, v23
	v_mul_f32_e32 v3, 0x3f6eb680, v17
	v_fmac_f32_e32 v44, 0x3e3c28d5, v22
	v_fmac_f32_e32 v46, 0xbf2c7751, v22
	v_fmac_f32_e32 v45, 0x3f2c7751, v22
	v_fmac_f32_e32 v47, 0x3f763a35, v22
	v_mov_b32_e32 v19, v3
	v_fmac_f32_e32 v3, 0x3eb8f4ab, v16
	v_mul_f32_e32 v22, 0xbf59a7d5, v17
	v_add_f32_e32 v73, v73, v77
	v_add_f32_e32 v75, v75, v79
	v_add_f32_e32 v74, v74, v78
	v_add_f32_e32 v76, v76, v80
	v_fmac_f32_e32 v19, 0xbeb8f4ab, v16
	v_add_f32_e32 v3, v3, v28
	v_mov_b32_e32 v23, v22
	v_fmac_f32_e32 v22, 0xbf06c442, v16
	v_mul_f32_e32 v28, 0x3f3d2fb0, v17
	v_add_f32_e32 v61, v61, v73
	v_add_f32_e32 v71, v71, v75
	v_add_f32_e32 v70, v70, v74
	v_add_f32_e32 v72, v72, v76
	v_add_f32_e32 v19, v19, v29
	v_fmac_f32_e32 v23, 0x3f06c442, v16
	v_add_f32_e32 v22, v22, v30
	v_mov_b32_e32 v29, v28
	v_fmac_f32_e32 v28, 0x3f2c7751, v16
	v_mul_f32_e32 v30, 0xbf1a4643, v17
	v_add_f32_e32 v57, v57, v61
	;; [unrolled: 10-line block ×3, first 2 shown]
	v_add_f32_e32 v55, v55, v59
	v_add_f32_e32 v54, v54, v58
	;; [unrolled: 1-line block ×4, first 2 shown]
	v_fmac_f32_e32 v31, 0x3f4c4adb, v16
	v_add_f32_e32 v30, v30, v34
	v_mov_b32_e32 v33, v32
	v_fmac_f32_e32 v32, 0x3f65296c, v16
	v_mul_f32_e32 v34, 0xbe8c1d8e, v17
	v_mul_f32_e32 v17, 0x3dbcf732, v17
	v_add_f32_e32 v48, v48, v53
	v_add_f32_e32 v51, v51, v55
	;; [unrolled: 1-line block ×6, first 2 shown]
	v_mov_b32_e32 v35, v34
	v_mov_b32_e32 v43, v17
	v_fmac_f32_e32 v17, 0x3f7ee86f, v16
	v_add_f32_e32 v44, v44, v48
	v_add_f32_e32 v46, v46, v51
	;; [unrolled: 1-line block ×4, first 2 shown]
	v_fmac_f32_e32 v33, 0xbf65296c, v16
	v_fmac_f32_e32 v35, 0x3f763a35, v16
	;; [unrolled: 1-line block ×4, first 2 shown]
	v_add_f32_e32 v16, v17, v21
	v_add_f32_e32 v33, v33, v44
	;; [unrolled: 1-line block ×5, first 2 shown]
	s_waitcnt lgkmcnt(0)
	; wave barrier
	s_waitcnt lgkmcnt(0)
	ds_write2_b32 v62, v20, v18 offset1:17
	ds_write2_b32 v62, v19, v23 offset0:34 offset1:51
	ds_write2_b32 v62, v29, v31 offset0:68 offset1:85
	;; [unrolled: 1-line block ×7, first 2 shown]
	ds_write_b32 v62, v27 offset:1088
	v_add_u32_e32 v22, 0x400, v69
	v_add_u32_e32 v16, 0x600, v69
	;; [unrolled: 1-line block ×3, first 2 shown]
	s_waitcnt lgkmcnt(0)
	; wave barrier
	s_waitcnt lgkmcnt(0)
	ds_read2_b32 v[18:19], v22 offset0:33 offset1:84
	ds_read2_b32 v[16:17], v16 offset0:109 offset1:194
	;; [unrolled: 1-line block ×4, first 2 shown]
	ds_read_b32 v29, v14
	ds_read_b32 v30, v24
	;; [unrolled: 1-line block ×3, first 2 shown]
	v_add_u32_e32 v14, 0xa00, v69
	ds_read2_b32 v[24:25], v14 offset0:91 offset1:142
	ds_read_b32 v28, v69
	ds_read_b32 v32, v26
                                        ; implicit-def: $vgpr26
	s_and_saveexec_b64 s[4:5], s[0:1]
	s_cbranch_execz .LBB0_17
; %bb.16:
	ds_read_b32 v3, v15
	ds_read_b32 v27, v69 offset:2176
	ds_read_b32 v26, v69 offset:3332
.LBB0_17:
	s_or_b64 exec, exec, s[4:5]
	s_and_saveexec_b64 s[4:5], vcc
	s_cbranch_execz .LBB0_20
; %bb.18:
	v_lshlrev_b32_e32 v14, 1, v41
	v_mov_b32_e32 v15, 0
	v_lshlrev_b64 v[33:34], 3, v[14:15]
	v_mov_b32_e32 v35, s9
	v_add_co_u32_e32 v33, vcc, s8, v33
	v_addc_co_u32_e32 v34, vcc, v35, v34, vcc
	v_lshlrev_b32_e32 v14, 1, v40
	global_load_dwordx4 v[43:46], v[33:34], off offset:2176
	v_lshlrev_b64 v[33:34], 3, v[14:15]
	v_lshlrev_b32_e32 v14, 1, v39
	v_add_co_u32_e32 v33, vcc, s8, v33
	v_addc_co_u32_e32 v34, vcc, v35, v34, vcc
	global_load_dwordx4 v[51:54], v[33:34], off offset:2176
	v_lshlrev_b64 v[33:34], 3, v[14:15]
	v_lshlrev_b32_e32 v14, 1, v42
	v_add_co_u32_e32 v33, vcc, s8, v33
	v_addc_co_u32_e32 v34, vcc, v35, v34, vcc
	;; [unrolled: 5-line block ×3, first 2 shown]
	global_load_dwordx4 v[39:42], v[33:34], off offset:2176
	v_lshlrev_b64 v[33:34], 3, v[14:15]
	s_movk_i32 s6, 0x242
	v_add_co_u32_e32 v33, vcc, s8, v33
	v_addc_co_u32_e32 v34, vcc, v35, v34, vcc
	global_load_dwordx4 v[59:62], v[33:34], off offset:2176
	v_add_co_u32_e32 v0, vcc, s12, v0
	s_waitcnt vmcnt(4)
	v_mul_f32_e32 v14, v4, v44
	v_mul_f32_e32 v33, v13, v46
	s_waitcnt lgkmcnt(8)
	v_mul_f32_e32 v34, v16, v44
	s_waitcnt lgkmcnt(2)
	v_mul_f32_e32 v35, v25, v46
	v_fma_f32 v14, v16, v43, -v14
	v_fma_f32 v16, v25, v45, -v33
	v_fmac_f32_e32 v34, v4, v43
	v_fmac_f32_e32 v35, v13, v45
	s_waitcnt vmcnt(3)
	v_mul_f32_e32 v4, v11, v52
	v_mul_f32_e32 v13, v12, v54
	;; [unrolled: 1-line block ×4, first 2 shown]
	v_add_f32_e32 v43, v14, v16
	s_waitcnt lgkmcnt(0)
	v_add_f32_e32 v45, v32, v14
	v_fma_f32 v4, v23, v51, -v4
	v_fma_f32 v48, v24, v53, -v13
	v_fmac_f32_e32 v25, v11, v51
	v_fmac_f32_e32 v33, v12, v53
	v_sub_f32_e32 v44, v34, v35
	v_add_f32_e32 v46, v34, v35
	v_sub_f32_e32 v47, v14, v16
	v_add_f32_e32 v34, v68, v34
	s_waitcnt vmcnt(2)
	v_mul_f32_e32 v23, v10, v56
	v_mul_f32_e32 v24, v9, v58
	v_fma_f32 v12, -0.5, v43, v32
	v_add_f32_e32 v14, v45, v16
	v_add_f32_e32 v16, v4, v48
	;; [unrolled: 1-line block ×5, first 2 shown]
	v_fma_f32 v49, v22, v55, -v23
	v_fma_f32 v51, v21, v57, -v24
	v_fma_f32 v32, -0.5, v16, v31
	v_fma_f32 v31, -0.5, v43, v67
	v_sub_f32_e32 v4, v4, v48
	v_add_f32_e32 v16, v49, v51
	v_mov_b32_e32 v43, v31
	v_fma_f32 v11, -0.5, v46, v68
	v_fmac_f32_e32 v31, 0xbf5db3d7, v4
	v_fma_f32 v46, -0.5, v16, v30
	v_fmac_f32_e32 v43, 0x3f5db3d7, v4
	v_mul_f32_e32 v4, v22, v56
	v_mul_f32_e32 v16, v21, v58
	v_fmac_f32_e32 v4, v10, v55
	v_fmac_f32_e32 v16, v9, v57
	v_add_f32_e32 v9, v4, v16
	v_sub_f32_e32 v21, v4, v16
	v_mov_b32_e32 v10, v46
	v_fma_f32 v45, -0.5, v9, v66
	v_fmac_f32_e32 v10, 0xbf5db3d7, v21
	v_sub_f32_e32 v22, v49, v51
	v_mov_b32_e32 v9, v45
	v_fmac_f32_e32 v46, 0x3f5db3d7, v21
	v_add_f32_e32 v21, v30, v49
	v_add_f32_e32 v4, v66, v4
	v_fmac_f32_e32 v9, 0x3f5db3d7, v22
	v_fmac_f32_e32 v45, 0xbf5db3d7, v22
	v_add_f32_e32 v22, v21, v51
	v_add_f32_e32 v21, v4, v16
	s_waitcnt vmcnt(1)
	v_mul_f32_e32 v4, v7, v40
	v_mul_f32_e32 v16, v8, v42
	v_sub_f32_e32 v35, v25, v33
	v_add_f32_e32 v25, v67, v25
	v_fma_f32 v4, v19, v39, -v4
	v_fma_f32 v16, v20, v41, -v16
	v_add_f32_e32 v33, v25, v33
	v_add_f32_e32 v25, v4, v16
	;; [unrolled: 1-line block ×3, first 2 shown]
	v_fma_f32 v48, -0.5, v25, v29
	v_mul_f32_e32 v19, v19, v40
	v_mul_f32_e32 v25, v20, v42
	v_fmac_f32_e32 v19, v7, v39
	v_fmac_f32_e32 v25, v8, v41
	v_sub_f32_e32 v20, v19, v25
	v_mov_b32_e32 v8, v48
	v_sub_f32_e32 v30, v4, v16
	v_add_f32_e32 v4, v29, v4
	v_fmac_f32_e32 v8, 0xbf5db3d7, v20
	v_fmac_f32_e32 v48, 0x3f5db3d7, v20
	v_add_f32_e32 v20, v4, v16
	v_add_f32_e32 v4, v65, v19
	v_mov_b32_e32 v24, v12
	v_add_f32_e32 v7, v19, v25
	v_add_f32_e32 v19, v4, v25
	s_waitcnt vmcnt(0)
	v_mul_f32_e32 v4, v6, v60
	v_fmac_f32_e32 v12, 0x3f5db3d7, v44
	v_mov_b32_e32 v23, v11
	v_fmac_f32_e32 v24, 0xbf5db3d7, v44
	v_mov_b32_e32 v44, v32
	v_fma_f32 v25, v18, v59, -v4
	v_mul_f32_e32 v4, v5, v62
	v_fmac_f32_e32 v11, 0xbf5db3d7, v47
	v_fmac_f32_e32 v23, 0x3f5db3d7, v47
	v_fmac_f32_e32 v32, 0x3f5db3d7, v35
	v_fmac_f32_e32 v44, 0xbf5db3d7, v35
	v_fma_f32 v47, -0.5, v7, v65
	v_fma_f32 v35, v17, v61, -v4
	v_mul_f32_e32 v39, v18, v60
	v_mul_f32_e32 v41, v17, v62
	v_mad_u64_u32 v[16:17], s[4:5], s2, v36, 0
	v_mov_b32_e32 v7, v47
	v_add_f32_e32 v4, v25, v35
	v_fmac_f32_e32 v39, v6, v59
	v_fmac_f32_e32 v41, v5, v61
	;; [unrolled: 1-line block ×4, first 2 shown]
	v_fma_f32 v30, -0.5, v4, v28
	v_add_f32_e32 v4, v39, v41
	v_sub_f32_e32 v6, v39, v41
	v_mov_b32_e32 v5, v30
	v_fma_f32 v29, -0.5, v4, v64
	v_fmac_f32_e32 v5, 0xbf5db3d7, v6
	v_sub_f32_e32 v18, v25, v35
	v_mov_b32_e32 v4, v29
	v_fmac_f32_e32 v30, 0x3f5db3d7, v6
	v_mov_b32_e32 v6, v17
	v_fmac_f32_e32 v4, 0x3f5db3d7, v18
	v_fmac_f32_e32 v29, 0xbf5db3d7, v18
	v_mad_u64_u32 v[17:18], s[4:5], s3, v36, v[6:7]
	v_add_f32_e32 v6, v64, v39
	v_add_u32_e32 v18, 0x121, v36
	v_add_f32_e32 v39, v6, v41
	v_mad_u64_u32 v[41:42], s[4:5], s2, v18, 0
	v_mov_b32_e32 v6, s13
	v_addc_co_u32_e32 v1, vcc, v6, v1, vcc
	v_mov_b32_e32 v6, v42
	v_mad_u64_u32 v[51:52], s[4:5], s3, v18, v[6:7]
	v_lshlrev_b64 v[16:17], 3, v[16:17]
	v_add_f32_e32 v25, v28, v25
	v_add_co_u32_e32 v16, vcc, v0, v16
	v_add_f32_e32 v40, v25, v35
	v_addc_co_u32_e32 v17, vcc, v1, v17, vcc
	v_add_u32_e32 v18, 0x242, v36
	v_mov_b32_e32 v42, v51
	v_mad_u64_u32 v[52:53], s[4:5], s2, v18, 0
	global_store_dwordx2 v[16:17], v[39:40], off
	v_lshlrev_b64 v[16:17], 3, v[41:42]
	v_mov_b32_e32 v6, v53
	v_add_co_u32_e32 v16, vcc, v0, v16
	v_addc_co_u32_e32 v17, vcc, v1, v17, vcc
	global_store_dwordx2 v[16:17], v[29:30], off
	v_mad_u64_u32 v[28:29], s[4:5], s2, v38, 0
	v_mad_u64_u32 v[39:40], s[4:5], s3, v18, v[6:7]
	v_mov_b32_e32 v6, v29
	v_add_u32_e32 v18, 0x154, v36
	v_mov_b32_e32 v53, v39
	v_mad_u64_u32 v[29:30], s[4:5], s3, v38, v[6:7]
	v_mad_u64_u32 v[38:39], s[4:5], s2, v18, 0
	v_lshlrev_b64 v[16:17], 3, v[52:53]
	v_add_co_u32_e32 v16, vcc, v0, v16
	v_addc_co_u32_e32 v17, vcc, v1, v17, vcc
	v_mov_b32_e32 v6, v39
	global_store_dwordx2 v[16:17], v[4:5], off
	v_mad_u64_u32 v[16:17], s[4:5], s3, v18, v[6:7]
	v_add_u32_e32 v18, 0x275, v36
	v_lshlrev_b64 v[4:5], 3, v[28:29]
	v_mov_b32_e32 v39, v16
	v_mad_u64_u32 v[16:17], s[4:5], s2, v18, 0
	v_add_co_u32_e32 v4, vcc, v0, v4
	v_addc_co_u32_e32 v5, vcc, v1, v5, vcc
	v_mov_b32_e32 v6, v17
	global_store_dwordx2 v[4:5], v[19:20], off
	v_lshlrev_b64 v[4:5], 3, v[38:39]
	v_mad_u64_u32 v[17:18], s[4:5], s3, v18, v[6:7]
	v_add_co_u32_e32 v4, vcc, v0, v4
	v_addc_co_u32_e32 v5, vcc, v1, v5, vcc
	v_add_u32_e32 v20, 0x66, v36
	v_mad_u64_u32 v[18:19], s[4:5], s2, v20, 0
	global_store_dwordx2 v[4:5], v[47:48], off
	v_lshlrev_b64 v[4:5], 3, v[16:17]
	v_mov_b32_e32 v6, v19
	v_add_co_u32_e32 v4, vcc, v0, v4
	v_addc_co_u32_e32 v5, vcc, v1, v5, vcc
	global_store_dwordx2 v[4:5], v[7:8], off
	v_add_u32_e32 v8, 0x187, v36
	v_mad_u64_u32 v[16:17], s[4:5], s3, v20, v[6:7]
	v_mad_u64_u32 v[6:7], s[4:5], s2, v8, 0
	v_mov_b32_e32 v19, v16
	v_lshlrev_b64 v[4:5], 3, v[18:19]
	v_mad_u64_u32 v[7:8], s[4:5], s3, v8, v[7:8]
	v_add_u32_e32 v8, 0x2a8, v36
	v_mad_u64_u32 v[16:17], s[4:5], s2, v8, 0
	v_add_co_u32_e32 v4, vcc, v0, v4
	v_addc_co_u32_e32 v5, vcc, v1, v5, vcc
	global_store_dwordx2 v[4:5], v[21:22], off
	v_lshlrev_b64 v[4:5], 3, v[6:7]
	v_mov_b32_e32 v6, v17
	v_mad_u64_u32 v[6:7], s[4:5], s3, v8, v[6:7]
	v_add_u32_e32 v8, 0x99, v36
	v_add_co_u32_e32 v4, vcc, v0, v4
	v_mov_b32_e32 v17, v6
	v_mad_u64_u32 v[6:7], s[4:5], s2, v8, 0
	v_addc_co_u32_e32 v5, vcc, v1, v5, vcc
	v_mad_u64_u32 v[7:8], s[4:5], s3, v8, v[7:8]
	v_add_u32_e32 v8, 0x1ba, v36
	global_store_dwordx2 v[4:5], v[45:46], off
	v_lshlrev_b64 v[4:5], 3, v[16:17]
	v_mad_u64_u32 v[16:17], s[4:5], s2, v8, 0
	v_add_co_u32_e32 v4, vcc, v0, v4
	v_addc_co_u32_e32 v5, vcc, v1, v5, vcc
	global_store_dwordx2 v[4:5], v[9:10], off
	v_lshlrev_b64 v[4:5], 3, v[6:7]
	v_mov_b32_e32 v6, v17
	v_mad_u64_u32 v[6:7], s[4:5], s3, v8, v[6:7]
	v_add_u32_e32 v8, 0x2db, v36
	v_add_u32_e32 v9, 0xcc, v36
	v_mov_b32_e32 v17, v6
	v_mad_u64_u32 v[6:7], s[4:5], s2, v8, 0
	s_mov_b32 s4, 0xe2c4a689
	v_mul_hi_u32 v10, v9, s4
	v_mad_u64_u32 v[7:8], s[4:5], s3, v8, v[7:8]
	v_add_co_u32_e32 v4, vcc, v0, v4
	v_lshrrev_b32_e32 v8, 8, v10
	v_addc_co_u32_e32 v5, vcc, v1, v5, vcc
	v_mad_u32_u24 v10, v8, s6, v9
	global_store_dwordx2 v[4:5], v[33:34], off
	v_lshlrev_b64 v[4:5], 3, v[16:17]
	v_mad_u64_u32 v[8:9], s[4:5], s2, v10, 0
	v_add_co_u32_e32 v4, vcc, v0, v4
	v_addc_co_u32_e32 v5, vcc, v1, v5, vcc
	global_store_dwordx2 v[4:5], v[31:32], off
	v_lshlrev_b64 v[4:5], 3, v[6:7]
	v_mov_b32_e32 v6, v9
	v_mad_u64_u32 v[6:7], s[4:5], s3, v10, v[6:7]
	v_add_co_u32_e32 v4, vcc, v0, v4
	v_addc_co_u32_e32 v5, vcc, v1, v5, vcc
	v_mov_b32_e32 v9, v6
	global_store_dwordx2 v[4:5], v[43:44], off
	v_lshlrev_b64 v[4:5], 3, v[8:9]
	v_add_u32_e32 v8, 0x121, v10
	v_mad_u64_u32 v[6:7], s[4:5], s2, v8, 0
	v_add_u32_e32 v10, 0x242, v10
	v_add_co_u32_e32 v4, vcc, v0, v4
	v_mad_u64_u32 v[7:8], s[4:5], s3, v8, v[7:8]
	v_mad_u64_u32 v[8:9], s[4:5], s2, v10, 0
	v_addc_co_u32_e32 v5, vcc, v1, v5, vcc
	global_store_dwordx2 v[4:5], v[13:14], off
	v_lshlrev_b64 v[4:5], 3, v[6:7]
	v_mov_b32_e32 v6, v9
	v_mad_u64_u32 v[6:7], s[4:5], s3, v10, v[6:7]
	v_add_co_u32_e32 v4, vcc, v0, v4
	v_addc_co_u32_e32 v5, vcc, v1, v5, vcc
	v_mov_b32_e32 v9, v6
	global_store_dwordx2 v[4:5], v[11:12], off
	v_lshlrev_b64 v[4:5], 3, v[8:9]
	v_add_co_u32_e32 v4, vcc, v0, v4
	v_addc_co_u32_e32 v5, vcc, v1, v5, vcc
	global_store_dwordx2 v[4:5], v[23:24], off
	s_and_b64 exec, exec, s[0:1]
	s_cbranch_execz .LBB0_20
; %bb.19:
	v_subrev_u32_e32 v4, 34, v36
	v_cndmask_b32_e64 v4, v4, v37, s[0:1]
	v_lshlrev_b32_e32 v14, 1, v4
	v_lshlrev_b64 v[4:5], 3, v[14:15]
	v_mov_b32_e32 v6, s9
	v_add_co_u32_e32 v4, vcc, s8, v4
	v_addc_co_u32_e32 v5, vcc, v6, v5, vcc
	global_load_dwordx4 v[4:7], v[4:5], off offset:2176
	v_add_u32_e32 v14, 0xff, v36
	v_add_u32_e32 v16, 0x220, v36
	v_mad_u64_u32 v[8:9], s[0:1], s2, v14, 0
	v_mad_u64_u32 v[10:11], s[0:1], s2, v16, 0
	v_add_u32_e32 v17, 0x341, v36
	v_mad_u64_u32 v[12:13], s[0:1], s2, v17, 0
	v_mad_u64_u32 v[14:15], s[0:1], s3, v14, v[9:10]
	;; [unrolled: 1-line block ×4, first 2 shown]
	v_mov_b32_e32 v9, v14
	v_lshlrev_b64 v[8:9], 3, v[8:9]
	v_mov_b32_e32 v11, v15
	v_lshlrev_b64 v[10:11], 3, v[10:11]
	v_add_co_u32_e32 v8, vcc, v0, v8
	v_mov_b32_e32 v13, v16
	v_addc_co_u32_e32 v9, vcc, v1, v9, vcc
	v_lshlrev_b64 v[12:13], 3, v[12:13]
	v_add_co_u32_e32 v10, vcc, v0, v10
	v_addc_co_u32_e32 v11, vcc, v1, v11, vcc
	v_add_co_u32_e32 v0, vcc, v0, v12
	v_addc_co_u32_e32 v1, vcc, v1, v13, vcc
	s_waitcnt vmcnt(0)
	v_mul_f32_e32 v12, v27, v5
	v_mul_f32_e32 v5, v50, v5
	;; [unrolled: 1-line block ×4, first 2 shown]
	v_fmac_f32_e32 v12, v50, v4
	v_fma_f32 v4, v27, v4, -v5
	v_fmac_f32_e32 v13, v63, v6
	v_fma_f32 v5, v26, v6, -v7
	v_add_f32_e32 v7, v12, v13
	v_add_f32_e32 v16, v4, v5
	;; [unrolled: 1-line block ×4, first 2 shown]
	v_fmac_f32_e32 v2, -0.5, v7
	v_fmac_f32_e32 v3, -0.5, v16
	v_sub_f32_e32 v14, v4, v5
	v_sub_f32_e32 v12, v12, v13
	v_add_f32_e32 v4, v6, v13
	v_mov_b32_e32 v6, v2
	v_mov_b32_e32 v7, v3
	v_add_f32_e32 v5, v15, v5
	v_fmac_f32_e32 v6, 0xbf5db3d7, v14
	v_fmac_f32_e32 v7, 0x3f5db3d7, v12
	;; [unrolled: 1-line block ×4, first 2 shown]
	global_store_dwordx2 v[8:9], v[4:5], off
	global_store_dwordx2 v[10:11], v[6:7], off
	global_store_dwordx2 v[0:1], v[2:3], off
.LBB0_20:
	s_endpgm
	.section	.rodata,"a",@progbits
	.p2align	6, 0x0
	.amdhsa_kernel fft_rtc_back_len867_factors_17_17_3_wgs_51_tpt_51_halfLds_sp_ip_CI_sbrr_dirReg
		.amdhsa_group_segment_fixed_size 0
		.amdhsa_private_segment_fixed_size 0
		.amdhsa_kernarg_size 88
		.amdhsa_user_sgpr_count 6
		.amdhsa_user_sgpr_private_segment_buffer 1
		.amdhsa_user_sgpr_dispatch_ptr 0
		.amdhsa_user_sgpr_queue_ptr 0
		.amdhsa_user_sgpr_kernarg_segment_ptr 1
		.amdhsa_user_sgpr_dispatch_id 0
		.amdhsa_user_sgpr_flat_scratch_init 0
		.amdhsa_user_sgpr_private_segment_size 0
		.amdhsa_uses_dynamic_stack 0
		.amdhsa_system_sgpr_private_segment_wavefront_offset 0
		.amdhsa_system_sgpr_workgroup_id_x 1
		.amdhsa_system_sgpr_workgroup_id_y 0
		.amdhsa_system_sgpr_workgroup_id_z 0
		.amdhsa_system_sgpr_workgroup_info 0
		.amdhsa_system_vgpr_workitem_id 0
		.amdhsa_next_free_vgpr 98
		.amdhsa_next_free_sgpr 24
		.amdhsa_reserve_vcc 1
		.amdhsa_reserve_flat_scratch 0
		.amdhsa_float_round_mode_32 0
		.amdhsa_float_round_mode_16_64 0
		.amdhsa_float_denorm_mode_32 3
		.amdhsa_float_denorm_mode_16_64 3
		.amdhsa_dx10_clamp 1
		.amdhsa_ieee_mode 1
		.amdhsa_fp16_overflow 0
		.amdhsa_exception_fp_ieee_invalid_op 0
		.amdhsa_exception_fp_denorm_src 0
		.amdhsa_exception_fp_ieee_div_zero 0
		.amdhsa_exception_fp_ieee_overflow 0
		.amdhsa_exception_fp_ieee_underflow 0
		.amdhsa_exception_fp_ieee_inexact 0
		.amdhsa_exception_int_div_zero 0
	.end_amdhsa_kernel
	.text
.Lfunc_end0:
	.size	fft_rtc_back_len867_factors_17_17_3_wgs_51_tpt_51_halfLds_sp_ip_CI_sbrr_dirReg, .Lfunc_end0-fft_rtc_back_len867_factors_17_17_3_wgs_51_tpt_51_halfLds_sp_ip_CI_sbrr_dirReg
                                        ; -- End function
	.section	.AMDGPU.csdata,"",@progbits
; Kernel info:
; codeLenInByte = 15232
; NumSgprs: 28
; NumVgprs: 98
; ScratchSize: 0
; MemoryBound: 0
; FloatMode: 240
; IeeeMode: 1
; LDSByteSize: 0 bytes/workgroup (compile time only)
; SGPRBlocks: 3
; VGPRBlocks: 24
; NumSGPRsForWavesPerEU: 28
; NumVGPRsForWavesPerEU: 98
; Occupancy: 2
; WaveLimiterHint : 1
; COMPUTE_PGM_RSRC2:SCRATCH_EN: 0
; COMPUTE_PGM_RSRC2:USER_SGPR: 6
; COMPUTE_PGM_RSRC2:TRAP_HANDLER: 0
; COMPUTE_PGM_RSRC2:TGID_X_EN: 1
; COMPUTE_PGM_RSRC2:TGID_Y_EN: 0
; COMPUTE_PGM_RSRC2:TGID_Z_EN: 0
; COMPUTE_PGM_RSRC2:TIDIG_COMP_CNT: 0
	.type	__hip_cuid_67d558a1f0ece351,@object ; @__hip_cuid_67d558a1f0ece351
	.section	.bss,"aw",@nobits
	.globl	__hip_cuid_67d558a1f0ece351
__hip_cuid_67d558a1f0ece351:
	.byte	0                               ; 0x0
	.size	__hip_cuid_67d558a1f0ece351, 1

	.ident	"AMD clang version 19.0.0git (https://github.com/RadeonOpenCompute/llvm-project roc-6.4.0 25133 c7fe45cf4b819c5991fe208aaa96edf142730f1d)"
	.section	".note.GNU-stack","",@progbits
	.addrsig
	.addrsig_sym __hip_cuid_67d558a1f0ece351
	.amdgpu_metadata
---
amdhsa.kernels:
  - .args:
      - .actual_access:  read_only
        .address_space:  global
        .offset:         0
        .size:           8
        .value_kind:     global_buffer
      - .offset:         8
        .size:           8
        .value_kind:     by_value
      - .actual_access:  read_only
        .address_space:  global
        .offset:         16
        .size:           8
        .value_kind:     global_buffer
      - .actual_access:  read_only
        .address_space:  global
        .offset:         24
        .size:           8
        .value_kind:     global_buffer
      - .offset:         32
        .size:           8
        .value_kind:     by_value
      - .actual_access:  read_only
        .address_space:  global
        .offset:         40
        .size:           8
        .value_kind:     global_buffer
      - .actual_access:  read_only
        .address_space:  global
        .offset:         48
        .size:           8
        .value_kind:     global_buffer
      - .offset:         56
        .size:           4
        .value_kind:     by_value
      - .actual_access:  read_only
        .address_space:  global
        .offset:         64
        .size:           8
        .value_kind:     global_buffer
      - .actual_access:  read_only
        .address_space:  global
        .offset:         72
        .size:           8
        .value_kind:     global_buffer
      - .address_space:  global
        .offset:         80
        .size:           8
        .value_kind:     global_buffer
    .group_segment_fixed_size: 0
    .kernarg_segment_align: 8
    .kernarg_segment_size: 88
    .language:       OpenCL C
    .language_version:
      - 2
      - 0
    .max_flat_workgroup_size: 51
    .name:           fft_rtc_back_len867_factors_17_17_3_wgs_51_tpt_51_halfLds_sp_ip_CI_sbrr_dirReg
    .private_segment_fixed_size: 0
    .sgpr_count:     28
    .sgpr_spill_count: 0
    .symbol:         fft_rtc_back_len867_factors_17_17_3_wgs_51_tpt_51_halfLds_sp_ip_CI_sbrr_dirReg.kd
    .uniform_work_group_size: 1
    .uses_dynamic_stack: false
    .vgpr_count:     98
    .vgpr_spill_count: 0
    .wavefront_size: 64
amdhsa.target:   amdgcn-amd-amdhsa--gfx906
amdhsa.version:
  - 1
  - 2
...

	.end_amdgpu_metadata
